;; amdgpu-corpus repo=ROCm/rocFFT kind=compiled arch=gfx1201 opt=O3
	.text
	.amdgcn_target "amdgcn-amd-amdhsa--gfx1201"
	.amdhsa_code_object_version 6
	.protected	bluestein_single_fwd_len484_dim1_sp_op_CI_CI ; -- Begin function bluestein_single_fwd_len484_dim1_sp_op_CI_CI
	.globl	bluestein_single_fwd_len484_dim1_sp_op_CI_CI
	.p2align	8
	.type	bluestein_single_fwd_len484_dim1_sp_op_CI_CI,@function
bluestein_single_fwd_len484_dim1_sp_op_CI_CI: ; @bluestein_single_fwd_len484_dim1_sp_op_CI_CI
; %bb.0:
	s_load_b128 s[8:11], s[0:1], 0x28
	v_mul_u32_u24_e32 v1, 0x5d2, v0
	s_mov_b32 s2, exec_lo
	v_mov_b32_e32 v65, 0
	s_delay_alu instid0(VALU_DEP_2) | instskip(NEXT) | instid1(VALU_DEP_1)
	v_lshrrev_b32_e32 v1, 16, v1
	v_add_nc_u32_e32 v64, ttmp9, v1
	s_wait_kmcnt 0x0
	s_delay_alu instid0(VALU_DEP_1)
	v_cmpx_gt_u64_e64 s[8:9], v[64:65]
	s_cbranch_execz .LBB0_15
; %bb.1:
	s_clause 0x1
	s_load_b128 s[4:7], s[0:1], 0x18
	s_load_b64 s[16:17], s[0:1], 0x0
	v_mul_lo_u16 v1, v1, 44
	s_movk_i32 s2, 0xfec1
	s_mov_b32 s3, -1
	s_delay_alu instid0(VALU_DEP_1) | instskip(NEXT) | instid1(VALU_DEP_1)
	v_sub_nc_u16 v22, v0, v1
	v_and_b32_e32 v84, 0xffff, v22
	s_wait_kmcnt 0x0
	s_load_b128 s[12:15], s[4:5], 0x0
	s_wait_kmcnt 0x0
	v_mad_co_u64_u32 v[0:1], null, s14, v64, 0
	v_mad_co_u64_u32 v[2:3], null, s12, v84, 0
	s_mul_u64 s[4:5], s[12:13], 0x79
	s_mul_u64 s[2:3], s[12:13], s[2:3]
	s_delay_alu instid0(SALU_CYCLE_1) | instskip(NEXT) | instid1(VALU_DEP_1)
	s_lshl_b64 s[2:3], s[2:3], 3
	v_mad_co_u64_u32 v[4:5], null, s15, v64, v[1:2]
	s_delay_alu instid0(VALU_DEP_1) | instskip(NEXT) | instid1(VALU_DEP_3)
	v_mov_b32_e32 v1, v4
	v_mad_co_u64_u32 v[5:6], null, s13, v84, v[3:4]
	v_lshlrev_b32_e32 v83, 3, v84
	s_delay_alu instid0(VALU_DEP_3)
	v_lshlrev_b64_e32 v[0:1], 3, v[0:1]
	global_load_b64 v[77:78], v83, s[16:17]
	v_mov_b32_e32 v3, v5
	s_clause 0x2
	global_load_b64 v[81:82], v83, s[16:17] offset:968
	global_load_b64 v[79:80], v83, s[16:17] offset:1936
	global_load_b64 v[69:70], v83, s[16:17] offset:2904
	v_add_co_u32 v0, vcc_lo, s10, v0
	v_add_co_ci_u32_e32 v1, vcc_lo, s11, v1, vcc_lo
	v_lshlrev_b64_e32 v[2:3], 3, v[2:3]
	s_lshl_b64 s[10:11], s[4:5], 3
	s_delay_alu instid0(VALU_DEP_1) | instskip(SKIP_1) | instid1(VALU_DEP_2)
	v_add_co_u32 v0, vcc_lo, v0, v2
	s_wait_alu 0xfffd
	v_add_co_ci_u32_e32 v1, vcc_lo, v1, v3, vcc_lo
	s_wait_alu 0xfffe
	s_delay_alu instid0(VALU_DEP_2) | instskip(SKIP_1) | instid1(VALU_DEP_2)
	v_add_co_u32 v2, vcc_lo, v0, s10
	s_wait_alu 0xfffd
	v_add_co_ci_u32_e32 v3, vcc_lo, s11, v1, vcc_lo
	s_delay_alu instid0(VALU_DEP_2) | instskip(SKIP_1) | instid1(VALU_DEP_2)
	v_add_co_u32 v4, vcc_lo, v2, s10
	s_wait_alu 0xfffd
	v_add_co_ci_u32_e32 v5, vcc_lo, s11, v3, vcc_lo
	s_clause 0x1
	global_load_b64 v[6:7], v[0:1], off
	global_load_b64 v[2:3], v[2:3], off
	v_add_co_u32 v0, vcc_lo, v4, s10
	s_wait_alu 0xfffd
	v_add_co_ci_u32_e32 v1, vcc_lo, s11, v5, vcc_lo
	s_clause 0x1
	global_load_b64 v[4:5], v[4:5], off
	global_load_b64 v[10:11], v[0:1], off
	v_add_co_u32 v8, vcc_lo, v0, s2
	s_wait_alu 0xfffd
	v_add_co_ci_u32_e32 v9, vcc_lo, s3, v1, vcc_lo
	s_delay_alu instid0(VALU_DEP_2) | instskip(SKIP_1) | instid1(VALU_DEP_2)
	v_add_co_u32 v0, vcc_lo, v8, s10
	s_wait_alu 0xfffd
	v_add_co_ci_u32_e32 v1, vcc_lo, s11, v9, vcc_lo
	s_delay_alu instid0(VALU_DEP_2) | instskip(SKIP_1) | instid1(VALU_DEP_2)
	v_add_co_u32 v14, vcc_lo, v0, s10
	s_wait_alu 0xfffd
	v_add_co_ci_u32_e32 v15, vcc_lo, s11, v1, vcc_lo
	s_wait_loadcnt 0x3
	v_mul_f32_e32 v18, v7, v78
	s_clause 0x1
	global_load_b64 v[67:68], v83, s[16:17] offset:1320
	global_load_b64 v[75:76], v83, s[16:17] offset:352
	global_load_b64 v[8:9], v[8:9], off
	global_load_b64 v[12:13], v[0:1], off
	v_add_co_u32 v0, vcc_lo, v14, s10
	s_wait_alu 0xfffd
	v_add_co_ci_u32_e32 v1, vcc_lo, s11, v15, vcc_lo
	v_fmac_f32_e32 v18, v6, v77
	s_clause 0x1
	global_load_b64 v[71:72], v83, s[16:17] offset:3256
	global_load_b64 v[73:74], v83, s[16:17] offset:2288
	global_load_b64 v[14:15], v[14:15], off
	global_load_b64 v[16:17], v[0:1], off
	v_mul_f32_e32 v19, v6, v78
	s_wait_loadcnt 0x9
	v_dual_mul_f32 v20, v3, v82 :: v_dual_mul_f32 v23, v4, v80
	s_load_b64 s[8:9], s[0:1], 0x38
	s_load_b128 s[4:7], s[6:7], 0x0
	s_wait_loadcnt 0x8
	v_mul_f32_e32 v6, v11, v70
	v_fma_f32 v19, v7, v77, -v19
	v_mul_f32_e32 v7, v2, v82
	v_fmac_f32_e32 v20, v2, v81
	v_mul_f32_e32 v2, v5, v80
	v_mul_f32_e32 v24, v10, v70
	v_fmac_f32_e32 v6, v10, v69
	v_add_co_u32 v65, s12, s16, v83
	s_delay_alu instid0(VALU_DEP_4)
	v_fmac_f32_e32 v2, v4, v79
	v_fma_f32 v21, v3, v81, -v7
	v_fma_f32 v3, v5, v79, -v23
	;; [unrolled: 1-line block ×3, first 2 shown]
	s_wait_alu 0xf1ff
	v_add_co_ci_u32_e64 v66, null, s17, 0, s12
	v_cmp_gt_u16_e32 vcc_lo, 33, v22
	s_wait_loadcnt 0x5
	v_mul_f32_e32 v5, v8, v76
	v_mul_f32_e32 v4, v9, v76
	s_wait_loadcnt 0x4
	v_mul_f32_e32 v10, v13, v68
	ds_store_b64 v83, v[20:21] offset:968
	ds_store_b64 v83, v[2:3] offset:1936
	ds_store_b64 v83, v[6:7] offset:2904
	v_mul_f32_e32 v3, v12, v68
	v_fma_f32 v5, v9, v75, -v5
	s_wait_loadcnt 0x1
	v_mul_f32_e32 v7, v14, v74
	v_mul_f32_e32 v2, v15, v74
	v_fmac_f32_e32 v4, v8, v75
	s_wait_loadcnt 0x0
	v_mul_f32_e32 v6, v17, v72
	v_mul_f32_e32 v8, v16, v72
	v_fmac_f32_e32 v10, v12, v67
	v_fma_f32 v11, v13, v67, -v3
	v_fmac_f32_e32 v2, v14, v73
	v_fma_f32 v3, v15, v73, -v7
	;; [unrolled: 2-line block ×3, first 2 shown]
	ds_store_2addr_b64 v83, v[18:19], v[4:5] offset1:44
	ds_store_b64 v83, v[10:11] offset:1320
	ds_store_b64 v83, v[2:3] offset:2288
	;; [unrolled: 1-line block ×3, first 2 shown]
	s_and_saveexec_b32 s12, vcc_lo
	s_cbranch_execz .LBB0_3
; %bb.2:
	v_add_co_u32 v0, s2, v0, s2
	s_wait_alu 0xf1ff
	v_add_co_ci_u32_e64 v1, s2, s3, v1, s2
	s_delay_alu instid0(VALU_DEP_2) | instskip(SKIP_1) | instid1(VALU_DEP_2)
	v_add_co_u32 v2, s2, v0, s10
	s_wait_alu 0xf1ff
	v_add_co_ci_u32_e64 v3, s2, s11, v1, s2
	global_load_b64 v[4:5], v[65:66], off offset:704
	global_load_b64 v[0:1], v[0:1], off
	global_load_b64 v[6:7], v[2:3], off
	v_add_co_u32 v2, s2, v2, s10
	s_wait_alu 0xf1ff
	v_add_co_ci_u32_e64 v3, s2, s11, v3, s2
	global_load_b64 v[8:9], v[65:66], off offset:1672
	v_add_co_u32 v10, s2, v2, s10
	s_wait_alu 0xf1ff
	v_add_co_ci_u32_e64 v11, s2, s11, v3, s2
	global_load_b64 v[2:3], v[2:3], off
	s_clause 0x1
	global_load_b64 v[12:13], v[65:66], off offset:2640
	global_load_b64 v[14:15], v[65:66], off offset:3608
	global_load_b64 v[10:11], v[10:11], off
	s_wait_loadcnt 0x6
	v_mul_f32_e32 v16, v1, v5
	v_mul_f32_e32 v17, v0, v5
	s_wait_loadcnt 0x4
	v_mul_f32_e32 v5, v7, v9
	s_delay_alu instid0(VALU_DEP_1) | instskip(SKIP_3) | instid1(VALU_DEP_1)
	v_fmac_f32_e32 v5, v6, v8
	v_fmac_f32_e32 v16, v0, v4
	s_wait_loadcnt 0x2
	v_mul_f32_e32 v0, v3, v13
	v_fmac_f32_e32 v0, v2, v12
	v_fma_f32 v17, v1, v4, -v17
	v_mul_f32_e32 v1, v6, v9
	s_wait_loadcnt 0x0
	v_dual_mul_f32 v4, v2, v13 :: v_dual_mul_f32 v9, v11, v15
	v_mul_f32_e32 v13, v10, v15
	v_add_nc_u32_e32 v2, 0x800, v83
	v_fma_f32 v6, v7, v8, -v1
	s_delay_alu instid0(VALU_DEP_4)
	v_fma_f32 v1, v3, v12, -v4
	v_fmac_f32_e32 v9, v10, v14
	v_fma_f32 v10, v11, v14, -v13
	ds_store_2addr_b64 v83, v[16:17], v[5:6] offset0:88 offset1:209
	ds_store_2addr_b64 v2, v[0:1], v[9:10] offset0:74 offset1:195
.LBB0_3:
	s_wait_alu 0xfffe
	s_or_b32 exec_lo, exec_lo, s12
	v_add_nc_u32_e32 v0, 0x400, v83
	v_add_nc_u32_e32 v4, 0x800, v83
	global_wb scope:SCOPE_SE
	s_wait_dscnt 0x0
	s_wait_kmcnt 0x0
	s_barrier_signal -1
	s_barrier_wait -1
	global_inv scope:SCOPE_SE
	ds_load_2addr_b64 v[12:15], v83 offset1:44
	ds_load_2addr_b64 v[8:11], v83 offset0:121 offset1:165
	ds_load_2addr_b64 v[20:23], v0 offset0:114 offset1:158
	;; [unrolled: 1-line block ×3, first 2 shown]
	s_load_b64 s[0:1], s[0:1], 0x8
                                        ; implicit-def: $vgpr6
                                        ; implicit-def: $vgpr2
	s_and_saveexec_b32 s2, vcc_lo
	s_cbranch_execz .LBB0_5
; %bb.4:
	ds_load_2addr_b64 v[0:3], v83 offset0:88 offset1:209
	ds_load_2addr_b64 v[4:7], v4 offset0:74 offset1:195
.LBB0_5:
	s_wait_alu 0xfffe
	s_or_b32 exec_lo, exec_lo, s2
	s_wait_dscnt 0x1
	v_dual_sub_f32 v20, v12, v20 :: v_dual_sub_f32 v21, v13, v21
	s_wait_dscnt 0x0
	v_dual_sub_f32 v16, v8, v16 :: v_dual_sub_f32 v17, v9, v17
	v_dual_sub_f32 v22, v14, v22 :: v_dual_lshlrev_b32 v87, 5, v84
	s_delay_alu instid0(VALU_DEP_3) | instskip(NEXT) | instid1(VALU_DEP_3)
	v_fma_f32 v12, v12, 2.0, -v20
	v_fma_f32 v8, v8, 2.0, -v16
	v_fma_f32 v13, v13, 2.0, -v21
	v_fma_f32 v9, v9, 2.0, -v17
	v_dual_sub_f32 v23, v15, v23 :: v_dual_sub_f32 v26, v10, v18
	s_delay_alu instid0(VALU_DEP_4) | instskip(NEXT) | instid1(VALU_DEP_3)
	v_sub_f32_e32 v8, v12, v8
	v_dual_sub_f32 v18, v11, v19 :: v_dual_sub_f32 v9, v13, v9
	v_fma_f32 v19, v14, 2.0, -v22
	s_delay_alu instid0(VALU_DEP_4) | instskip(SKIP_1) | instid1(VALU_DEP_4)
	v_fma_f32 v25, v15, 2.0, -v23
	v_fma_f32 v14, v10, 2.0, -v26
	;; [unrolled: 1-line block ×3, first 2 shown]
	v_dual_add_f32 v11, v21, v16 :: v_dual_sub_f32 v10, v20, v17
	v_add_co_u32 v28, null, 0x58, v84
	s_delay_alu instid0(VALU_DEP_3) | instskip(SKIP_1) | instid1(VALU_DEP_4)
	v_dual_sub_f32 v17, v25, v15 :: v_dual_sub_f32 v16, v19, v14
	v_sub_f32_e32 v5, v1, v5
	v_fma_f32 v14, v20, 2.0, -v10
	v_lshlrev_b16 v20, 2, v84
	v_dual_sub_f32 v18, v22, v18 :: v_dual_sub_f32 v7, v3, v7
	v_fma_f32 v24, v19, 2.0, -v16
	v_dual_add_f32 v19, v23, v26 :: v_dual_sub_f32 v4, v0, v4
	v_dual_sub_f32 v6, v2, v6 :: v_dual_lshlrev_b32 v85, 5, v28
	v_and_b32_e32 v20, 0xffff, v20
	v_fma_f32 v12, v12, 2.0, -v8
	v_fma_f32 v13, v13, 2.0, -v9
	v_fma_f32 v15, v21, 2.0, -v11
	v_fma_f32 v26, v22, 2.0, -v18
	v_fma_f32 v27, v23, 2.0, -v19
	v_dual_add_f32 v23, v6, v5 :: v_dual_sub_f32 v22, v4, v7
	v_lshlrev_b32_e32 v86, 3, v20
	v_fma_f32 v25, v25, 2.0, -v17
	global_wb scope:SCOPE_SE
	s_wait_kmcnt 0x0
	s_barrier_signal -1
	s_barrier_wait -1
	global_inv scope:SCOPE_SE
	ds_store_b128 v86, v[12:15]
	ds_store_b128 v86, v[8:11] offset:16
	ds_store_b128 v87, v[24:27] offset:1408
	;; [unrolled: 1-line block ×3, first 2 shown]
	s_and_saveexec_b32 s2, vcc_lo
	s_cbranch_execz .LBB0_7
; %bb.6:
	v_fma_f32 v1, v1, 2.0, -v5
	v_fma_f32 v3, v3, 2.0, -v7
	v_fma_f32 v0, v0, 2.0, -v4
	v_fma_f32 v2, v2, 2.0, -v6
	s_delay_alu instid0(VALU_DEP_3) | instskip(SKIP_1) | instid1(VALU_DEP_3)
	v_sub_f32_e32 v21, v1, v3
	v_fma_f32 v3, v5, 2.0, -v23
	v_sub_f32_e32 v20, v0, v2
	v_fma_f32 v2, v4, 2.0, -v22
	s_delay_alu instid0(VALU_DEP_4) | instskip(NEXT) | instid1(VALU_DEP_3)
	v_fma_f32 v1, v1, 2.0, -v21
	v_fma_f32 v0, v0, 2.0, -v20
	ds_store_b128 v85, v[0:3]
	ds_store_b128 v85, v[20:23] offset:16
.LBB0_7:
	s_wait_alu 0xfffe
	s_or_b32 exec_lo, exec_lo, s2
	v_and_b32_e32 v20, 3, v84
	global_wb scope:SCOPE_SE
	s_wait_dscnt 0x0
	s_barrier_signal -1
	s_barrier_wait -1
	global_inv scope:SCOPE_SE
	v_mul_u32_u24_e32 v0, 10, v20
	v_lshrrev_b32_e32 v21, 2, v84
	v_mad_co_u64_u32 v[46:47], null, 0x50, v84, s[0:1]
	s_delay_alu instid0(VALU_DEP_3) | instskip(NEXT) | instid1(VALU_DEP_3)
	v_lshlrev_b32_e32 v8, 3, v0
	v_mul_u32_u24_e32 v21, 44, v21
	s_clause 0x4
	global_load_b128 v[16:19], v8, s[0:1]
	global_load_b128 v[12:15], v8, s[0:1] offset:16
	global_load_b128 v[4:7], v8, s[0:1] offset:32
	;; [unrolled: 1-line block ×4, first 2 shown]
	ds_load_2addr_b64 v[24:27], v83 offset1:44
	ds_load_2addr_b64 v[28:31], v83 offset0:88 offset1:132
	v_add_nc_u32_e32 v56, 0x800, v83
	ds_load_2addr_b64 v[32:35], v83 offset0:176 offset1:220
	ds_load_b64 v[44:45], v83 offset:3520
	v_or_b32_e32 v20, v21, v20
	s_add_nc_u64 s[0:1], s[16:17], 0xf20
	s_wait_loadcnt_dscnt 0x403
	s_delay_alu instid0(VALU_DEP_1)
	v_dual_mul_f32 v21, v26, v17 :: v_dual_lshlrev_b32 v88, 3, v20
	s_wait_loadcnt_dscnt 0x301
	v_mul_f32_e32 v53, v32, v15
	v_mul_f32_e32 v51, v30, v13
	ds_load_2addr_b64 v[36:39], v56 offset0:8 offset1:52
	ds_load_2addr_b64 v[40:43], v56 offset0:96 offset1:140
	v_mul_f32_e32 v20, v27, v17
	s_wait_loadcnt 0x2
	v_dual_mul_f32 v48, v29, v19 :: v_dual_mul_f32 v55, v34, v5
	v_dual_mul_f32 v49, v28, v19 :: v_dual_mul_f32 v50, v31, v13
	v_mul_f32_e32 v52, v33, v15
	s_wait_loadcnt_dscnt 0x2
	v_dual_mul_f32 v54, v35, v5 :: v_dual_mul_f32 v91, v44, v11
	v_dual_mul_f32 v90, v45, v11 :: v_dual_fmac_f32 v51, v31, v12
	global_wb scope:SCOPE_SE
	s_wait_dscnt 0x0
	s_barrier_signal -1
	s_barrier_wait -1
	global_inv scope:SCOPE_SE
	v_fmac_f32_e32 v21, v27, v16
	v_mul_f32_e32 v57, v37, v7
	v_dual_mul_f32 v58, v36, v7 :: v_dual_mul_f32 v63, v43, v9
	v_mul_f32_e32 v59, v39, v1
	v_mul_f32_e32 v61, v41, v3
	v_dual_mul_f32 v62, v40, v3 :: v_dual_mul_f32 v89, v42, v9
	v_fma_f32 v20, v26, v16, -v20
	v_mul_f32_e32 v60, v38, v1
	v_fma_f32 v26, v28, v18, -v48
	v_fmac_f32_e32 v49, v29, v18
	v_fma_f32 v27, v30, v12, -v50
	v_fma_f32 v28, v32, v14, -v52
	v_fmac_f32_e32 v60, v39, v0
	v_fma_f32 v31, v38, v0, -v59
	v_fma_f32 v32, v40, v2, -v61
	v_fmac_f32_e32 v53, v33, v14
	v_dual_fmac_f32 v62, v41, v2 :: v_dual_fmac_f32 v89, v43, v8
	v_fma_f32 v40, v42, v8, -v63
	v_fma_f32 v42, v44, v10, -v90
	v_dual_fmac_f32 v91, v45, v10 :: v_dual_add_f32 v52, v28, v31
	v_add_f32_e32 v33, v24, v20
	v_fma_f32 v29, v34, v4, -v54
	v_dual_add_f32 v34, v25, v21 :: v_dual_fmac_f32 v55, v35, v4
	v_fmac_f32_e32 v58, v37, v6
	v_fma_f32 v30, v36, v6, -v57
	v_dual_add_f32 v35, v20, v42 :: v_dual_add_f32 v36, v21, v91
	v_dual_sub_f32 v20, v20, v42 :: v_dual_sub_f32 v21, v21, v91
	v_dual_add_f32 v37, v26, v40 :: v_dual_add_f32 v38, v49, v89
	v_dual_sub_f32 v39, v26, v40 :: v_dual_add_f32 v48, v51, v62
	v_dual_sub_f32 v41, v49, v89 :: v_dual_sub_f32 v54, v28, v31
	v_dual_sub_f32 v45, v27, v32 :: v_dual_add_f32 v26, v33, v26
	v_add_f32_e32 v44, v27, v32
	v_dual_sub_f32 v43, v51, v62 :: v_dual_sub_f32 v50, v53, v60
	v_sub_f32_e32 v59, v55, v58
	v_dual_add_f32 v61, v29, v30 :: v_dual_mul_f32 v92, 0xbf68dda4, v21
	v_dual_sub_f32 v63, v29, v30 :: v_dual_mul_f32 v94, 0xbf7d64f0, v21
	v_add_f32_e32 v33, v34, v49
	v_dual_mul_f32 v34, 0xbf0a6770, v21 :: v_dual_mul_f32 v49, 0xbf0a6770, v20
	v_mul_f32_e32 v116, 0xbf0a6770, v50
	v_dual_mul_f32 v93, 0xbf68dda4, v20 :: v_dual_mul_f32 v98, 0xbf68dda4, v41
	v_dual_mul_f32 v95, 0xbf7d64f0, v20 :: v_dual_mul_f32 v106, 0xbf7d64f0, v43
	;; [unrolled: 1-line block ×3, first 2 shown]
	v_mul_f32_e32 v20, 0xbe903f40, v20
	v_dual_mul_f32 v100, 0xbf4178ce, v41 :: v_dual_mul_f32 v101, 0xbf4178ce, v39
	v_dual_mul_f32 v102, 0x3e903f40, v41 :: v_dual_mul_f32 v103, 0x3e903f40, v39
	;; [unrolled: 1-line block ×3, first 2 shown]
	v_dual_mul_f32 v41, 0x3f0a6770, v41 :: v_dual_add_f32 v26, v26, v27
	v_dual_add_f32 v57, v53, v60 :: v_dual_add_f32 v90, v55, v58
	v_dual_mul_f32 v21, 0xbe903f40, v21 :: v_dual_mul_f32 v122, 0xbe903f40, v59
	v_dual_mul_f32 v109, 0xbf0a6770, v43 :: v_dual_mul_f32 v120, 0xbf0a6770, v54
	v_mul_f32_e32 v110, 0xbf7d64f0, v45
	v_dual_mul_f32 v112, 0x3f68dda4, v45 :: v_dual_mul_f32 v125, 0x3f68dda4, v59
	v_mul_f32_e32 v114, 0xbf4178ce, v50
	;; [unrolled: 2-line block ×3, first 2 shown]
	v_dual_mul_f32 v127, 0x3f0a6770, v63 :: v_dual_add_f32 v26, v26, v28
	v_mul_f32_e32 v129, 0x3f68dda4, v63
	v_fma_f32 v130, 0x3f575c64, v35, -v34
	v_mul_f32_e32 v99, 0xbf68dda4, v39
	v_dual_fmamk_f32 v131, v36, 0x3f575c64, v49 :: v_dual_fmac_f32 v34, 0x3f575c64, v35
	v_mul_f32_e32 v39, 0x3f0a6770, v39
	v_mul_f32_e32 v111, 0x3e903f40, v45
	v_fma_f32 v49, 0x3f575c64, v36, -v49
	v_mul_f32_e32 v108, 0x3f68dda4, v43
	v_fma_f32 v132, 0x3ed4b147, v35, -v92
	v_mul_f32_e32 v124, 0xbf4178ce, v59
	v_dual_fmamk_f32 v133, v36, 0x3ed4b147, v93 :: v_dual_fmac_f32 v92, 0x3ed4b147, v35
	v_mul_f32_e32 v107, 0x3e903f40, v43
	v_mul_f32_e32 v43, 0xbf4178ce, v43
	;; [unrolled: 1-line block ×4, first 2 shown]
	v_fma_f32 v93, 0x3ed4b147, v36, -v93
	v_mul_f32_e32 v128, 0xbf4178ce, v63
	v_fma_f32 v134, 0xbe11bafb, v35, -v94
	v_dual_fmamk_f32 v135, v36, 0xbe11bafb, v95 :: v_dual_fmac_f32 v94, 0xbe11bafb, v35
	v_mul_f32_e32 v115, 0x3f7d64f0, v50
	v_mul_f32_e32 v50, 0x3f68dda4, v50
	;; [unrolled: 1-line block ×3, first 2 shown]
	s_delay_alu instid0(VALU_DEP_4)
	v_dual_mul_f32 v59, 0xbf7d64f0, v59 :: v_dual_add_f32 v94, v24, v94
	v_fma_f32 v136, 0xbf27a4f4, v35, -v96
	v_dual_fmamk_f32 v137, v36, 0xbf27a4f4, v97 :: v_dual_fmac_f32 v96, 0xbf27a4f4, v35
	v_mul_f32_e32 v119, 0x3f7d64f0, v54
	v_mul_f32_e32 v121, 0xbe903f40, v54
	v_dual_mul_f32 v54, 0x3f68dda4, v54 :: v_dual_add_f32 v27, v33, v51
	v_fmamk_f32 v139, v36, 0xbf75a155, v20
	v_fma_f32 v20, 0xbf75a155, v36, -v20
	v_mul_f32_e32 v63, 0xbf7d64f0, v63
	v_fma_f32 v95, 0xbe11bafb, v36, -v95
	v_fma_f32 v97, 0xbf27a4f4, v36, -v97
	;; [unrolled: 1-line block ×3, first 2 shown]
	v_dual_add_f32 v20, v25, v20 :: v_dual_fmac_f32 v21, 0xbf75a155, v35
	v_fma_f32 v35, 0x3ed4b147, v37, -v98
	v_fmamk_f32 v36, v38, 0x3ed4b147, v99
	v_dual_fmac_f32 v98, 0x3ed4b147, v37 :: v_dual_fmamk_f32 v167, v90, 0x3ed4b147, v129
	v_fma_f32 v99, 0x3ed4b147, v38, -v99
	v_fma_f32 v140, 0xbf27a4f4, v37, -v100
	v_dual_fmamk_f32 v141, v38, 0xbf27a4f4, v101 :: v_dual_fmac_f32 v100, 0xbf27a4f4, v37
	v_fma_f32 v101, 0xbf27a4f4, v38, -v101
	v_fma_f32 v142, 0xbf75a155, v37, -v102
	v_dual_fmamk_f32 v143, v38, 0xbf75a155, v103 :: v_dual_fmac_f32 v102, 0xbf75a155, v37
	;; [unrolled: 3-line block ×3, first 2 shown]
	v_fma_f32 v105, 0xbe11bafb, v38, -v105
	v_fma_f32 v146, 0x3f575c64, v37, -v41
	v_fmac_f32_e32 v41, 0x3f575c64, v37
	v_fma_f32 v147, 0xbf75a155, v44, -v107
	v_fmac_f32_e32 v107, 0xbf75a155, v44
	v_fma_f32 v149, 0x3f575c64, v44, -v109
	v_fmac_f32_e32 v109, 0x3f575c64, v44
	v_fma_f32 v150, 0xbf27a4f4, v44, -v43
	v_fmac_f32_e32 v43, 0xbf27a4f4, v44
	v_dual_fmamk_f32 v33, v48, 0xbe11bafb, v110 :: v_dual_fmamk_f32 v168, v90, 0xbe11bafb, v63
	v_dual_fmamk_f32 v152, v48, 0xbf27a4f4, v45 :: v_dual_add_f32 v95, v25, v95
	v_fma_f32 v45, 0xbf27a4f4, v48, -v45
	v_fma_f32 v153, 0xbe11bafb, v52, -v115
	v_fmac_f32_e32 v115, 0xbe11bafb, v52
	v_fma_f32 v154, 0x3f575c64, v52, -v116
	v_fmac_f32_e32 v116, 0x3f575c64, v52
	v_fma_f32 v155, 0xbf75a155, v52, -v117
	v_fmac_f32_e32 v117, 0xbf75a155, v52
	v_fma_f32 v156, 0x3ed4b147, v52, -v50
	v_dual_fmac_f32 v50, 0x3ed4b147, v52 :: v_dual_add_f32 v97, v25, v97
	v_fmamk_f32 v157, v57, 0xbe11bafb, v119
	v_fma_f32 v119, 0xbe11bafb, v57, -v119
	v_fmamk_f32 v158, v57, 0x3f575c64, v120
	v_fma_f32 v120, 0x3f575c64, v57, -v120
	;; [unrolled: 2-line block ×3, first 2 shown]
	v_fma_f32 v161, 0x3f575c64, v61, -v123
	v_fma_f32 v162, 0xbf27a4f4, v61, -v124
	v_fmac_f32_e32 v124, 0xbf27a4f4, v61
	v_fma_f32 v163, 0x3ed4b147, v61, -v125
	v_fmac_f32_e32 v125, 0x3ed4b147, v61
	v_fma_f32 v164, 0xbe11bafb, v61, -v59
	v_fma_f32 v129, 0x3ed4b147, v90, -v129
	v_fma_f32 v63, 0xbe11bafb, v90, -v63
	v_dual_add_f32 v34, v24, v34 :: v_dual_fmamk_f32 v37, v38, 0x3f575c64, v39
	v_fma_f32 v38, 0x3f575c64, v38, -v39
	v_fma_f32 v39, 0xbe11bafb, v44, -v106
	v_dual_fmac_f32 v106, 0xbe11bafb, v44 :: v_dual_fmac_f32 v59, 0xbe11bafb, v61
	v_fmamk_f32 v165, v90, 0x3f575c64, v127
	v_fma_f32 v127, 0x3f575c64, v90, -v127
	v_add_f32_e32 v49, v25, v49
	v_fma_f32 v148, 0x3ed4b147, v44, -v108
	v_fmac_f32_e32 v108, 0x3ed4b147, v44
	v_fma_f32 v44, 0xbe11bafb, v48, -v110
	v_fmamk_f32 v51, v48, 0xbf75a155, v111
	v_fma_f32 v110, 0xbf75a155, v48, -v111
	v_fmamk_f32 v111, v48, 0x3ed4b147, v112
	v_fma_f32 v112, 0x3ed4b147, v48, -v112
	v_add_f32_e32 v92, v24, v92
	v_fmamk_f32 v151, v48, 0x3f575c64, v113
	v_fma_f32 v113, 0x3f575c64, v48, -v113
	v_fma_f32 v48, 0xbf27a4f4, v52, -v114
	v_fmac_f32_e32 v114, 0xbf27a4f4, v52
	v_fmamk_f32 v52, v57, 0xbf27a4f4, v118
	v_fma_f32 v118, 0xbf27a4f4, v57, -v118
	v_dual_add_f32 v93, v25, v93 :: v_dual_fmamk_f32 v166, v90, 0xbf27a4f4, v128
	v_add_f32_e32 v27, v27, v53
	v_fma_f32 v128, 0xbf27a4f4, v90, -v128
	v_dual_add_f32 v96, v24, v96 :: v_dual_fmamk_f32 v159, v57, 0xbf75a155, v121
	v_fma_f32 v121, 0xbf75a155, v57, -v121
	v_fma_f32 v57, 0xbf75a155, v61, -v122
	v_fmac_f32_e32 v122, 0xbf75a155, v61
	s_delay_alu instid0(VALU_DEP_4)
	v_dual_fmac_f32 v123, 0x3f575c64, v61 :: v_dual_add_f32 v96, v104, v96
	v_fmamk_f32 v61, v90, 0xbf75a155, v126
	v_fma_f32 v126, 0xbf75a155, v90, -v126
	v_add_f32_e32 v90, v24, v130
	v_dual_add_f32 v130, v25, v131 :: v_dual_add_f32 v131, v24, v132
	v_dual_add_f32 v132, v25, v133 :: v_dual_add_f32 v133, v24, v134
	;; [unrolled: 1-line block ×5, first 2 shown]
	v_add_f32_e32 v24, v26, v29
	v_add_f32_e32 v28, v25, v139
	;; [unrolled: 1-line block ×5, first 2 shown]
	s_delay_alu instid0(VALU_DEP_4) | instskip(SKIP_1) | instid1(VALU_DEP_3)
	v_dual_add_f32 v27, v36, v130 :: v_dual_add_f32 v28, v37, v28
	v_dual_add_f32 v29, v98, v34 :: v_dual_add_f32 v34, v99, v49
	;; [unrolled: 1-line block ×3, first 2 shown]
	v_add_f32_e32 v92, v102, v94
	v_dual_add_f32 v94, v144, v135 :: v_dual_add_f32 v55, v142, v133
	v_add_f32_e32 v98, v146, v137
	v_add_f32_e32 v26, v39, v26
	;; [unrolled: 1-line block ×4, first 2 shown]
	v_dual_add_f32 v97, v105, v97 :: v_dual_add_f32 v24, v24, v30
	s_delay_alu instid0(VALU_DEP_4)
	v_add_f32_e32 v26, v48, v26
	v_add_f32_e32 v30, v44, v34
	;; [unrolled: 1-line block ×4, first 2 shown]
	v_dual_add_f32 v44, v149, v94 :: v_dual_add_f32 v37, v148, v55
	v_add_f32_e32 v55, v150, v98
	v_dual_add_f32 v93, v103, v95 :: v_dual_add_f32 v20, v45, v20
	v_dual_add_f32 v95, v145, v136 :: v_dual_add_f32 v24, v24, v31
	;; [unrolled: 1-line block ×6, first 2 shown]
	v_add_f32_e32 v33, v147, v35
	v_add_f32_e32 v35, v107, v49
	;; [unrolled: 1-line block ×3, first 2 shown]
	v_dual_add_f32 v49, v151, v95 :: v_dual_add_f32 v28, v152, v28
	v_add_f32_e32 v29, v106, v29
	v_add_f32_e32 v50, v50, v21
	v_add_f32_e32 v31, v153, v33
	v_add_f32_e32 v41, v112, v93
	v_dual_add_f32 v33, v157, v34 :: v_dual_add_f32 v34, v115, v35
	v_add_f32_e32 v53, v113, v97
	v_dual_add_f32 v35, v119, v36 :: v_dual_add_f32 v36, v154, v37
	v_dual_add_f32 v37, v158, v38 :: v_dual_add_f32 v38, v116, v39
	v_add_f32_e32 v25, v25, v60
	v_add_f32_e32 v29, v114, v29
	;; [unrolled: 1-line block ×3, first 2 shown]
	v_dual_add_f32 v41, v155, v44 :: v_dual_add_f32 v44, v117, v51
	v_add_f32_e32 v27, v52, v27
	v_dual_add_f32 v52, v24, v32 :: v_dual_add_f32 v43, v159, v49
	v_dual_add_f32 v49, v160, v28 :: v_dual_add_f32 v28, v123, v34
	;; [unrolled: 1-line block ×3, first 2 shown]
	v_add_f32_e32 v53, v25, v62
	v_dual_add_f32 v51, v54, v20 :: v_dual_add_f32 v20, v57, v26
	v_add_f32_e32 v25, v126, v30
	v_add_f32_e32 v30, v162, v36
	;; [unrolled: 1-line block ×4, first 2 shown]
	v_dual_add_f32 v27, v165, v33 :: v_dual_add_f32 v38, v164, v48
	v_add_f32_e32 v24, v122, v29
	v_dual_add_f32 v44, v53, v89 :: v_dual_add_f32 v29, v127, v35
	v_add_f32_e32 v35, v167, v43
	v_dual_add_f32 v43, v52, v40 :: v_dual_add_f32 v40, v59, v50
	v_dual_add_f32 v26, v161, v31 :: v_dual_add_f32 v31, v166, v37
	v_add_f32_e32 v34, v163, v41
	v_add_f32_e32 v37, v129, v45
	;; [unrolled: 1-line block ×3, first 2 shown]
	ds_store_2addr_b64 v88, v[26:27], v[30:31] offset0:8 offset1:12
	v_dual_add_f32 v26, v43, v42 :: v_dual_add_f32 v33, v128, v39
	v_add_f32_e32 v39, v168, v49
	v_add_f32_e32 v27, v44, v91
	ds_store_2addr_b64 v88, v[34:35], v[38:39] offset0:16 offset1:20
	ds_store_2addr_b64 v88, v[40:41], v[36:37] offset0:24 offset1:28
	;; [unrolled: 1-line block ×3, first 2 shown]
	ds_store_b64 v88, v[24:25] offset:320
	ds_store_2addr_b64 v88, v[26:27], v[20:21] offset1:4
	global_wb scope:SCOPE_SE
	s_wait_dscnt 0x0
	s_barrier_signal -1
	s_barrier_wait -1
	global_inv scope:SCOPE_SE
	s_clause 0x4
	global_load_b128 v[40:43], v[46:47], off offset:320
	global_load_b128 v[36:39], v[46:47], off offset:336
	;; [unrolled: 1-line block ×5, first 2 shown]
	ds_load_2addr_b64 v[44:47], v83 offset1:44
	ds_load_2addr_b64 v[89:92], v83 offset0:88 offset1:132
	ds_load_2addr_b64 v[93:96], v83 offset0:176 offset1:220
	;; [unrolled: 1-line block ×4, first 2 shown]
	ds_load_b64 v[50:51], v83 offset:3520
	s_wait_loadcnt_dscnt 0x304
	v_dual_mul_f32 v61, v89, v43 :: v_dual_mul_f32 v58, v92, v37
	s_wait_loadcnt_dscnt 0x203
	v_dual_mul_f32 v57, v90, v43 :: v_dual_mul_f32 v106, v96, v29
	s_wait_loadcnt_dscnt 0x0
	v_mul_f32_e32 v111, v51, v35
	v_mul_f32_e32 v49, v50, v35
	v_fma_f32 v60, v91, v36, -v58
	v_mul_f32_e32 v55, v47, v41
	v_mul_f32_e32 v107, v98, v31
	v_fma_f32 v50, v50, v34, -v111
	v_dual_fmac_f32 v61, v90, v42 :: v_dual_mul_f32 v52, v97, v31
	s_delay_alu instid0(VALU_DEP_4) | instskip(NEXT) | instid1(VALU_DEP_4)
	v_fma_f32 v112, v46, v40, -v55
	v_fma_f32 v55, v97, v30, -v107
	v_mul_f32_e32 v54, v93, v39
	v_mul_f32_e32 v20, v99, v25
	;; [unrolled: 1-line block ×3, first 2 shown]
	v_sub_f32_e32 v90, v112, v50
	v_fmac_f32_e32 v52, v98, v30
	v_fmac_f32_e32 v54, v94, v38
	v_dual_fmac_f32 v20, v100, v24 :: v_dual_fmac_f32 v49, v51, v34
	s_delay_alu instid0(VALU_DEP_4)
	v_mul_f32_e32 v111, 0xbf0a6770, v90
	v_mul_f32_e32 v113, 0xbf68dda4, v90
	;; [unrolled: 1-line block ×5, first 2 shown]
	v_fma_f32 v63, v89, v42, -v57
	v_fma_f32 v57, v95, v28, -v106
	v_mul_f32_e32 v53, v95, v29
	v_fma_f32 v51, v103, v32, -v110
	v_mul_f32_e32 v109, v102, v27
	v_mul_f32_e32 v62, v94, v39
	v_mul_f32_e32 v108, v100, v25
	v_fmac_f32_e32 v53, v96, v28
	v_mul_f32_e32 v105, v46, v41
	v_sub_f32_e32 v97, v63, v51
	v_mul_f32_e32 v48, v103, v33
	v_fma_f32 v58, v93, v38, -v62
	v_sub_f32_e32 v106, v53, v52
	v_mul_f32_e32 v21, v101, v27
	v_fmac_f32_e32 v105, v47, v40
	v_fma_f32 v47, v99, v24, -v108
	s_delay_alu instid0(VALU_DEP_4) | instskip(NEXT) | instid1(VALU_DEP_4)
	v_dual_mul_f32 v59, v91, v37 :: v_dual_mul_f32 v124, 0xbe903f40, v106
	v_fmac_f32_e32 v21, v102, v26
	v_sub_f32_e32 v102, v54, v20
	v_fmac_f32_e32 v48, v104, v32
	v_sub_f32_e32 v104, v58, v47
	v_add_f32_e32 v94, v44, v112
	v_sub_f32_e32 v108, v57, v55
	v_mul_f32_e32 v122, 0xbf4178ce, v102
	v_fma_f32 v46, v101, v26, -v109
	v_dual_mul_f32 v136, 0xbf0a6770, v102 :: v_dual_add_f32 v103, v58, v47
	s_delay_alu instid0(VALU_DEP_4) | instskip(SKIP_1) | instid1(VALU_DEP_4)
	v_mul_f32_e32 v144, 0xbe903f40, v108
	v_mul_f32_e32 v146, 0xbf4178ce, v108
	v_sub_f32_e32 v100, v60, v46
	v_add_f32_e32 v89, v112, v50
	v_add_f32_e32 v93, v63, v51
	;; [unrolled: 1-line block ×3, first 2 shown]
	v_dual_add_f32 v99, v60, v46 :: v_dual_mul_f32 v138, 0x3f7d64f0, v104
	v_mul_f32_e32 v121, 0xbf7d64f0, v100
	v_mul_f32_e32 v132, 0x3e903f40, v100
	;; [unrolled: 1-line block ×6, first 2 shown]
	v_sub_f32_e32 v91, v105, v49
	v_dual_fmac_f32 v59, v92, v36 :: v_dual_mul_f32 v128, 0x3f7d64f0, v97
	v_dual_add_f32 v107, v57, v55 :: v_dual_mul_f32 v140, 0xbe903f40, v104
	s_delay_alu instid0(VALU_DEP_3) | instskip(NEXT) | instid1(VALU_DEP_3)
	v_mul_f32_e32 v114, 0xbf7d64f0, v91
	v_sub_f32_e32 v98, v59, v21
	v_dual_add_f32 v101, v59, v21 :: v_dual_mul_f32 v142, 0xbf4178ce, v106
	s_delay_alu instid0(VALU_DEP_3) | instskip(NEXT) | instid1(VALU_DEP_3)
	v_fma_f32 v151, 0xbe11bafb, v89, -v114
	v_mul_f32_e32 v130, 0x3f68dda4, v98
	v_mul_f32_e32 v110, 0xbf0a6770, v91
	;; [unrolled: 1-line block ×4, first 2 shown]
	v_dual_mul_f32 v91, 0xbe903f40, v91 :: v_dual_add_f32 v62, v105, v49
	v_add_f32_e32 v95, v45, v105
	v_sub_f32_e32 v96, v61, v48
	v_add_f32_e32 v92, v61, v48
	v_fma_f32 v148, 0x3f575c64, v89, -v110
	v_fmac_f32_e32 v110, 0x3f575c64, v89
	v_mul_f32_e32 v119, 0xbf68dda4, v97
	v_fma_f32 v153, 0xbf75a155, v89, -v91
	v_mul_f32_e32 v118, 0xbf68dda4, v96
	v_mul_f32_e32 v120, 0xbf7d64f0, v98
	v_dual_add_f32 v110, v44, v110 :: v_dual_mul_f32 v145, 0x3f0a6770, v108
	v_fma_f32 v152, 0xbf27a4f4, v89, -v116
	v_dual_fmac_f32 v116, 0xbf27a4f4, v89 :: v_dual_fmamk_f32 v155, v62, 0xbf27a4f4, v117
	v_mul_f32_e32 v129, 0x3e903f40, v98
	v_fmamk_f32 v157, v92, 0x3ed4b147, v119
	v_mul_f32_e32 v131, 0xbf0a6770, v98
	v_mul_f32_e32 v98, 0xbf4178ce, v98
	v_dual_fmamk_f32 v172, v101, 0xbf27a4f4, v100 :: v_dual_add_f32 v153, v44, v153
	v_mul_f32_e32 v147, 0x3f68dda4, v108
	v_dual_mul_f32 v108, 0xbf7d64f0, v108 :: v_dual_add_f32 v61, v95, v61
	v_fmamk_f32 v154, v62, 0xbe11bafb, v115
	v_add_f32_e32 v105, v54, v20
	v_mul_f32_e32 v94, 0xbf4178ce, v96
	v_mul_f32_e32 v95, 0x3e903f40, v96
	v_fma_f32 v150, 0x3ed4b147, v89, -v112
	v_fmac_f32_e32 v112, 0x3ed4b147, v89
	v_dual_fmac_f32 v114, 0xbe11bafb, v89 :: v_dual_fmamk_f32 v159, v101, 0xbe11bafb, v121
	v_mul_f32_e32 v123, 0xbf4178ce, v104
	v_dual_fmac_f32 v91, 0xbf75a155, v89 :: v_dual_fmamk_f32 v156, v62, 0xbf75a155, v90
	v_mul_f32_e32 v125, 0x3f7d64f0, v96
	v_mul_f32_e32 v96, 0x3f0a6770, v96
	v_fmamk_f32 v89, v62, 0x3ed4b147, v113
	v_dual_mul_f32 v127, 0x3e903f40, v97 :: v_dual_add_f32 v112, v44, v112
	v_fma_f32 v113, 0x3ed4b147, v62, -v113
	v_fma_f32 v115, 0xbe11bafb, v62, -v115
	v_add_f32_e32 v59, v61, v59
	v_mul_f32_e32 v139, 0xbf0a6770, v104
	v_mul_f32_e32 v104, 0x3f68dda4, v104
	v_dual_add_f32 v60, v63, v60 :: v_dual_fmamk_f32 v149, v62, 0x3f575c64, v111
	v_fma_f32 v111, 0x3f575c64, v62, -v111
	v_add_f32_e32 v109, v53, v52
	v_dual_mul_f32 v97, 0x3f0a6770, v97 :: v_dual_add_f32 v152, v44, v152
	v_fma_f32 v117, 0xbf27a4f4, v62, -v117
	v_fma_f32 v62, 0xbf75a155, v62, -v90
	;; [unrolled: 1-line block ×4, first 2 shown]
	v_fmac_f32_e32 v118, 0x3ed4b147, v93
	v_fmac_f32_e32 v120, 0xbe11bafb, v99
	v_fma_f32 v61, 0xbf27a4f4, v93, -v94
	v_mul_f32_e32 v137, 0xbe903f40, v102
	v_fmac_f32_e32 v94, 0xbf27a4f4, v93
	v_fma_f32 v63, 0xbf75a155, v93, -v95
	v_fmac_f32_e32 v95, 0xbf75a155, v93
	v_fma_f32 v162, 0xbe11bafb, v93, -v125
	;; [unrolled: 2-line block ×4, first 2 shown]
	v_fmamk_f32 v164, v92, 0xbf75a155, v127
	v_fma_f32 v127, 0xbf75a155, v92, -v127
	v_fma_f32 v169, 0xbf27a4f4, v99, -v98
	v_fmac_f32_e32 v98, 0xbf27a4f4, v99
	v_fma_f32 v180, 0xbf27a4f4, v107, -v142
	v_dual_fmac_f32 v142, 0xbf27a4f4, v107 :: v_dual_add_f32 v113, v45, v113
	v_add_f32_e32 v111, v45, v111
	v_mul_f32_e32 v135, 0x3f7d64f0, v102
	v_mul_f32_e32 v102, 0x3f68dda4, v102
	v_fma_f32 v160, 0xbf27a4f4, v103, -v122
	v_fmac_f32_e32 v122, 0xbf27a4f4, v103
	v_dual_add_f32 v114, v44, v114 :: v_dual_fmamk_f32 v161, v105, 0xbf27a4f4, v123
	v_add_f32_e32 v115, v45, v115
	v_dual_mul_f32 v143, 0x3f68dda4, v106 :: v_dual_add_f32 v116, v44, v116
	v_fmamk_f32 v119, v92, 0xbf27a4f4, v126
	v_fma_f32 v126, 0xbf27a4f4, v92, -v126
	v_mul_f32_e32 v141, 0x3f0a6770, v106
	v_mul_f32_e32 v106, 0xbf7d64f0, v106
	v_dual_add_f32 v54, v59, v54 :: v_dual_fmamk_f32 v165, v92, 0xbe11bafb, v128
	v_fma_f32 v128, 0xbe11bafb, v92, -v128
	v_dual_fmamk_f32 v166, v92, 0x3f575c64, v97 :: v_dual_fmamk_f32 v171, v101, 0x3f575c64, v134
	v_fma_f32 v92, 0x3f575c64, v92, -v97
	v_fma_f32 v97, 0xbf75a155, v99, -v129
	v_fmac_f32_e32 v129, 0xbf75a155, v99
	v_fma_f32 v167, 0x3ed4b147, v99, -v130
	v_dual_fmac_f32 v130, 0x3ed4b147, v99 :: v_dual_fmamk_f32 v185, v109, 0x3ed4b147, v147
	v_fma_f32 v168, 0x3f575c64, v99, -v131
	v_fmac_f32_e32 v131, 0x3f575c64, v99
	v_fma_f32 v99, 0xbe11bafb, v101, -v121
	v_fmamk_f32 v121, v101, 0xbf75a155, v132
	v_fma_f32 v132, 0xbf75a155, v101, -v132
	v_fma_f32 v134, 0x3f575c64, v101, -v134
	;; [unrolled: 1-line block ×4, first 2 shown]
	v_dual_fmac_f32 v136, 0x3f575c64, v103 :: v_dual_fmamk_f32 v183, v109, 0x3f575c64, v145
	v_fma_f32 v174, 0xbf75a155, v103, -v137
	v_fma_f32 v175, 0x3ed4b147, v103, -v102
	v_dual_fmac_f32 v102, 0x3ed4b147, v103 :: v_dual_add_f32 v89, v45, v89
	v_fmamk_f32 v177, v105, 0xbf75a155, v140
	v_fma_f32 v140, 0xbf75a155, v105, -v140
	v_fmamk_f32 v178, v105, 0x3ed4b147, v104
	v_fma_f32 v104, 0x3ed4b147, v105, -v104
	v_fma_f32 v179, 0x3f575c64, v107, -v141
	v_fmac_f32_e32 v141, 0x3f575c64, v107
	v_fma_f32 v181, 0x3ed4b147, v107, -v143
	v_fmac_f32_e32 v143, 0x3ed4b147, v107
	;; [unrolled: 2-line block ×3, first 2 shown]
	v_fma_f32 v145, 0x3f575c64, v109, -v145
	v_dual_fmamk_f32 v184, v109, 0xbf27a4f4, v146 :: v_dual_add_f32 v53, v54, v53
	v_fmac_f32_e32 v137, 0xbf75a155, v103
	v_fma_f32 v146, 0xbf27a4f4, v109, -v146
	v_fma_f32 v147, 0x3ed4b147, v109, -v147
	v_fmamk_f32 v186, v109, 0xbe11bafb, v108
	v_add_f32_e32 v52, v53, v52
	v_fma_f32 v108, 0xbe11bafb, v109, -v108
	v_add_f32_e32 v58, v60, v58
	v_fmamk_f32 v170, v101, 0x3ed4b147, v133
	v_fma_f32 v133, 0x3ed4b147, v101, -v133
	v_fmamk_f32 v176, v105, 0x3f575c64, v139
	v_fma_f32 v139, 0x3f575c64, v105, -v139
	v_dual_add_f32 v57, v58, v57 :: v_dual_add_f32 v54, v93, v111
	v_fma_f32 v101, 0xbe11bafb, v103, -v135
	v_fmac_f32_e32 v135, 0xbe11bafb, v103
	v_fma_f32 v103, 0xbf27a4f4, v105, -v123
	v_fmamk_f32 v123, v105, 0xbe11bafb, v138
	v_fma_f32 v138, 0xbe11bafb, v105, -v138
	v_fma_f32 v105, 0xbf75a155, v107, -v124
	v_fmac_f32_e32 v124, 0xbf75a155, v107
	v_fmamk_f32 v107, v109, 0xbf75a155, v144
	v_fma_f32 v144, 0xbf75a155, v109, -v144
	v_dual_add_f32 v109, v44, v148 :: v_dual_add_f32 v148, v45, v149
	v_add_f32_e32 v149, v44, v150
	v_dual_add_f32 v150, v44, v151 :: v_dual_add_f32 v151, v45, v154
	v_add_f32_e32 v154, v45, v155
	v_add_f32_e32 v117, v45, v117
	s_delay_alu instid0(VALU_DEP_4) | instskip(SKIP_3) | instid1(VALU_DEP_4)
	v_dual_add_f32 v58, v61, v149 :: v_dual_add_f32 v53, v99, v54
	v_add_f32_e32 v155, v45, v156
	v_add_f32_e32 v45, v45, v62
	;; [unrolled: 1-line block ×4, first 2 shown]
	v_dual_add_f32 v44, v44, v91 :: v_dual_add_f32 v59, v90, v109
	v_dual_add_f32 v110, v125, v116 :: v_dual_add_f32 v61, v119, v89
	s_delay_alu instid0(VALU_DEP_3) | instskip(SKIP_1) | instid1(VALU_DEP_4)
	v_dual_add_f32 v89, v94, v112 :: v_dual_add_f32 v54, v101, v54
	v_dual_add_f32 v62, v120, v62 :: v_dual_add_f32 v55, v57, v55
	v_add_f32_e32 v44, v96, v44
	v_add_f32_e32 v90, v126, v113
	s_delay_alu instid0(VALU_DEP_4) | instskip(NEXT) | instid1(VALU_DEP_4)
	v_add_f32_e32 v54, v179, v54
	v_dual_add_f32 v62, v122, v62 :: v_dual_add_f32 v47, v55, v47
	v_add_f32_e32 v45, v92, v45
	v_add_f32_e32 v55, v52, v20
	v_dual_add_f32 v59, v158, v59 :: v_dual_add_f32 v112, v163, v153
	v_add_f32_e32 v44, v98, v44
	v_dual_add_f32 v98, v103, v53 :: v_dual_add_f32 v113, v166, v155
	;; [unrolled: 2-line block ×3, first 2 shown]
	v_dual_add_f32 v100, v55, v21 :: v_dual_add_f32 v59, v160, v59
	v_dual_add_f32 v93, v95, v114 :: v_dual_add_f32 v60, v157, v148
	;; [unrolled: 1-line block ×3, first 2 shown]
	v_add_f32_e32 v96, v169, v112
	v_add_f32_e32 v57, v121, v61
	v_dual_add_f32 v61, v132, v90 :: v_dual_add_f32 v52, v105, v59
	v_add_f32_e32 v90, v130, v93
	v_add_f32_e32 v94, v127, v115
	v_dual_add_f32 v60, v159, v60 :: v_dual_add_f32 v91, v164, v151
	s_delay_alu instid0(VALU_DEP_3) | instskip(SKIP_2) | instid1(VALU_DEP_4)
	v_dual_add_f32 v95, v162, v152 :: v_dual_add_f32 v90, v136, v90
	v_dual_add_f32 v109, v165, v154 :: v_dual_add_f32 v96, v175, v96
	v_add_f32_e32 v58, v135, v58
	v_dual_add_f32 v63, v167, v63 :: v_dual_add_f32 v60, v161, v60
	v_add_f32_e32 v51, v62, v51
	v_add_f32_e32 v89, v170, v91
	;; [unrolled: 1-line block ×3, first 2 shown]
	v_dual_add_f32 v94, v131, v110 :: v_dual_add_f32 v111, v128, v117
	v_add_f32_e32 v93, v171, v109
	v_dual_add_f32 v99, v102, v44 :: v_dual_add_f32 v46, v141, v58
	v_dual_add_f32 v63, v173, v63 :: v_dual_add_f32 v44, v142, v90
	;; [unrolled: 1-line block ×4, first 2 shown]
	v_add_f32_e32 v95, v134, v111
	v_add_f32_e32 v97, v172, v113
	s_delay_alu instid0(VALU_DEP_4)
	v_add_f32_e32 v55, v183, v57
	v_add_f32_e32 v57, v180, v63
	;; [unrolled: 1-line block ×3, first 2 shown]
	v_dual_add_f32 v48, v182, v96 :: v_dual_add_f32 v93, v177, v93
	v_add_f32_e32 v90, v108, v45
	v_dual_add_f32 v95, v140, v95 :: v_dual_add_f32 v50, v51, v50
	v_dual_add_f32 v89, v176, v89 :: v_dual_add_f32 v92, v174, v92
	v_add_f32_e32 v97, v178, v97
	v_dual_add_f32 v53, v107, v60 :: v_dual_add_f32 v60, v185, v93
	s_delay_alu instid0(VALU_DEP_4)
	v_dual_add_f32 v61, v138, v61 :: v_dual_add_f32 v62, v147, v95
	v_add_f32_e32 v91, v139, v91
	v_add_f32_e32 v51, v63, v49
	v_dual_add_f32 v58, v184, v89 :: v_dual_add_f32 v59, v181, v92
	v_add_f32_e32 v49, v186, v97
	v_add_f32_e32 v47, v145, v61
	v_add_f32_e32 v61, v143, v94
	v_add_f32_e32 v89, v106, v99
	v_add_f32_e32 v45, v146, v91
	v_add_f32_e32 v21, v144, v98
	ds_store_2addr_b64 v83, v[50:51], v[52:53] offset1:44
	ds_store_2addr_b64 v83, v[54:55], v[57:58] offset0:88 offset1:132
	ds_store_2addr_b64 v83, v[59:60], v[48:49] offset0:176 offset1:220
	;; [unrolled: 1-line block ×4, first 2 shown]
	ds_store_b64 v83, v[20:21] offset:3520
	global_wb scope:SCOPE_SE
	s_wait_dscnt 0x0
	s_barrier_signal -1
	s_barrier_wait -1
	global_inv scope:SCOPE_SE
	s_clause 0x7
	global_load_b64 v[52:53], v[65:66], off offset:3872
	global_load_b64 v[62:63], v83, s[0:1] offset:352
	global_load_b64 v[93:94], v83, s[0:1] offset:968
	;; [unrolled: 1-line block ×7, first 2 shown]
	ds_load_2addr_b64 v[48:51], v83 offset1:44
	v_add_nc_u32_e32 v57, 0x400, v83
	s_wait_loadcnt_dscnt 0x700
	v_mul_f32_e32 v55, v49, v53
	v_mul_f32_e32 v54, v48, v53
	s_delay_alu instid0(VALU_DEP_2) | instskip(NEXT) | instid1(VALU_DEP_2)
	v_fma_f32 v53, v48, v52, -v55
	v_fmac_f32_e32 v54, v49, v52
	s_wait_loadcnt 0x6
	v_mul_f32_e32 v48, v51, v63
	v_mul_f32_e32 v49, v50, v63
	ds_store_b64 v83, v[53:54]
	ds_load_2addr_b64 v[52:55], v83 offset0:121 offset1:165
	ds_load_2addr_b64 v[58:61], v57 offset0:114 offset1:158
	;; [unrolled: 1-line block ×3, first 2 shown]
	v_fma_f32 v48, v50, v62, -v48
	v_fmac_f32_e32 v49, v51, v62
	s_wait_loadcnt_dscnt 0x502
	v_mul_f32_e32 v50, v53, v94
	s_wait_loadcnt_dscnt 0x401
	v_dual_mul_f32 v51, v52, v94 :: v_dual_mul_f32 v62, v59, v96
	v_mul_f32_e32 v63, v58, v96
	s_wait_loadcnt 0x2
	v_mul_f32_e32 v106, v55, v100
	v_mul_f32_e32 v96, v54, v100
	s_wait_dscnt 0x0
	v_mul_f32_e32 v105, v90, v98
	v_mul_f32_e32 v94, v89, v98
	s_wait_loadcnt 0x0
	v_mul_f32_e32 v98, v60, v104
	v_dual_mul_f32 v107, v61, v104 :: v_dual_mul_f32 v104, v92, v102
	v_mul_f32_e32 v100, v91, v102
	v_fma_f32 v50, v52, v93, -v50
	v_fmac_f32_e32 v51, v53, v93
	v_fma_f32 v62, v58, v95, -v62
	v_fmac_f32_e32 v63, v59, v95
	;; [unrolled: 2-line block ×6, first 2 shown]
	ds_store_2addr_b64 v83, v[48:49], v[50:51] offset0:44 offset1:121
	ds_store_2addr_b64 v83, v[95:96], v[62:63] offset0:165 offset1:242
	ds_store_2addr_b64 v56, v[97:98], v[93:94] offset0:30 offset1:107
	ds_store_b64 v83, v[99:100] offset:3256
	s_and_saveexec_b32 s2, vcc_lo
	s_cbranch_execz .LBB0_9
; %bb.8:
	s_wait_alu 0xfffe
	v_add_co_u32 v48, s0, s0, v83
	s_wait_alu 0xf1ff
	v_add_co_ci_u32_e64 v49, null, s1, 0, s0
	s_clause 0x3
	global_load_b64 v[58:59], v[48:49], off offset:704
	global_load_b64 v[60:61], v[48:49], off offset:1672
	;; [unrolled: 1-line block ×4, first 2 shown]
	ds_load_2addr_b64 v[48:51], v83 offset0:88 offset1:209
	ds_load_2addr_b64 v[52:55], v56 offset0:74 offset1:195
	s_wait_loadcnt_dscnt 0x201
	v_dual_mul_f32 v92, v49, v59 :: v_dual_mul_f32 v93, v51, v61
	v_mul_f32_e32 v91, v48, v59
	s_wait_loadcnt_dscnt 0x100
	v_dual_mul_f32 v59, v50, v61 :: v_dual_mul_f32 v94, v53, v63
	v_mul_f32_e32 v61, v52, v63
	s_wait_loadcnt 0x0
	v_mul_f32_e32 v95, v55, v90
	v_mul_f32_e32 v63, v54, v90
	v_fma_f32 v90, v48, v58, -v92
	v_fmac_f32_e32 v91, v49, v58
	v_fma_f32 v58, v50, v60, -v93
	v_fmac_f32_e32 v59, v51, v60
	v_fma_f32 v60, v52, v62, -v94
	v_fmac_f32_e32 v61, v53, v62
	v_fma_f32 v62, v54, v89, -v95
	v_fmac_f32_e32 v63, v55, v89
	ds_store_2addr_b64 v83, v[90:91], v[58:59] offset0:88 offset1:209
	ds_store_2addr_b64 v56, v[60:61], v[62:63] offset0:74 offset1:195
.LBB0_9:
	s_wait_alu 0xfffe
	s_or_b32 exec_lo, exec_lo, s2
	global_wb scope:SCOPE_SE
	s_wait_dscnt 0x0
	s_barrier_signal -1
	s_barrier_wait -1
	global_inv scope:SCOPE_SE
	ds_load_2addr_b64 v[48:51], v83 offset1:44
	ds_load_2addr_b64 v[52:55], v83 offset0:121 offset1:165
	ds_load_2addr_b64 v[60:63], v57 offset0:114 offset1:158
	;; [unrolled: 1-line block ×3, first 2 shown]
	v_add_nc_u32_e32 v87, 0x580, v87
	s_and_saveexec_b32 s0, vcc_lo
	s_cbranch_execz .LBB0_11
; %bb.10:
	v_add_nc_u32_e32 v20, 0x800, v83
	ds_load_2addr_b64 v[44:47], v83 offset0:88 offset1:209
	ds_load_2addr_b64 v[20:23], v20 offset0:74 offset1:195
.LBB0_11:
	s_wait_alu 0xfffe
	s_or_b32 exec_lo, exec_lo, s0
	s_wait_dscnt 0x1
	v_dual_sub_f32 v60, v48, v60 :: v_dual_sub_f32 v61, v49, v61
	s_wait_dscnt 0x0
	v_dual_sub_f32 v89, v52, v56 :: v_dual_sub_f32 v62, v50, v62
	v_dual_sub_f32 v63, v51, v63 :: v_dual_sub_f32 v90, v54, v58
	s_delay_alu instid0(VALU_DEP_3) | instskip(NEXT) | instid1(VALU_DEP_3)
	v_fma_f32 v48, v48, 2.0, -v60
	v_fma_f32 v52, v52, 2.0, -v89
	v_sub_f32_e32 v57, v53, v57
	v_fma_f32 v49, v49, 2.0, -v61
	v_fma_f32 v92, v50, 2.0, -v62
	;; [unrolled: 1-line block ×3, first 2 shown]
	v_sub_f32_e32 v56, v48, v52
	v_fma_f32 v53, v53, 2.0, -v57
	v_dual_sub_f32 v91, v55, v59 :: v_dual_add_f32 v58, v60, v57
	v_fma_f32 v51, v54, 2.0, -v90
	v_sub_f32_e32 v59, v61, v89
	s_delay_alu instid0(VALU_DEP_4) | instskip(NEXT) | instid1(VALU_DEP_4)
	v_sub_f32_e32 v57, v49, v53
	v_fma_f32 v53, v55, 2.0, -v91
	v_add_f32_e32 v54, v62, v91
	v_dual_sub_f32 v52, v92, v51 :: v_dual_sub_f32 v55, v63, v90
	v_fma_f32 v48, v48, 2.0, -v56
	s_delay_alu instid0(VALU_DEP_4)
	v_sub_f32_e32 v53, v93, v53
	v_fma_f32 v49, v49, 2.0, -v57
	v_fma_f32 v50, v60, 2.0, -v58
	;; [unrolled: 1-line block ×7, first 2 shown]
	global_wb scope:SCOPE_SE
	s_barrier_signal -1
	s_barrier_wait -1
	global_inv scope:SCOPE_SE
	ds_store_b128 v86, v[48:51]
	ds_store_b128 v86, v[56:59] offset:16
	ds_store_b128 v87, v[60:63]
	ds_store_b128 v87, v[52:55] offset:16
	s_and_saveexec_b32 s0, vcc_lo
	s_cbranch_execz .LBB0_13
; %bb.12:
	v_dual_sub_f32 v48, v45, v21 :: v_dual_sub_f32 v21, v47, v23
	v_dual_sub_f32 v49, v44, v20 :: v_dual_sub_f32 v20, v46, v22
	s_delay_alu instid0(VALU_DEP_2) | instskip(NEXT) | instid1(VALU_DEP_3)
	v_fma_f32 v45, v45, 2.0, -v48
	v_fma_f32 v47, v47, 2.0, -v21
	s_delay_alu instid0(VALU_DEP_3) | instskip(NEXT) | instid1(VALU_DEP_4)
	v_fma_f32 v44, v44, 2.0, -v49
	v_fma_f32 v46, v46, 2.0, -v20
	v_dual_sub_f32 v23, v48, v20 :: v_dual_add_f32 v22, v21, v49
	s_delay_alu instid0(VALU_DEP_2) | instskip(NEXT) | instid1(VALU_DEP_2)
	v_dual_sub_f32 v21, v45, v47 :: v_dual_sub_f32 v20, v44, v46
	v_fma_f32 v47, v48, 2.0, -v23
	s_delay_alu instid0(VALU_DEP_3) | instskip(NEXT) | instid1(VALU_DEP_3)
	v_fma_f32 v46, v49, 2.0, -v22
	v_fma_f32 v45, v45, 2.0, -v21
	s_delay_alu instid0(VALU_DEP_4)
	v_fma_f32 v44, v44, 2.0, -v20
	ds_store_b128 v85, v[44:47]
	ds_store_b128 v85, v[20:23] offset:16
.LBB0_13:
	s_wait_alu 0xfffe
	s_or_b32 exec_lo, exec_lo, s0
	global_wb scope:SCOPE_SE
	s_wait_dscnt 0x0
	s_barrier_signal -1
	s_barrier_wait -1
	global_inv scope:SCOPE_SE
	ds_load_2addr_b64 v[44:47], v83 offset1:44
	ds_load_2addr_b64 v[48:51], v83 offset0:88 offset1:132
	ds_load_2addr_b64 v[52:55], v83 offset0:176 offset1:220
	v_add_nc_u32_e32 v20, 0x800, v83
	s_mov_b32 s2, 0x6be69c90
	s_mov_b32 s3, 0x3f60ecf5
	s_wait_dscnt 0x1
	v_dual_mul_f32 v85, v19, v49 :: v_dual_mul_f32 v86, v13, v51
	v_mul_f32_e32 v23, v17, v47
	v_mul_f32_e32 v17, v17, v46
	ds_load_b64 v[21:22], v83 offset:3520
	ds_load_2addr_b64 v[56:59], v20 offset0:8 offset1:52
	ds_load_2addr_b64 v[60:63], v20 offset0:96 offset1:140
	v_mul_f32_e32 v19, v19, v48
	v_mul_f32_e32 v13, v13, v50
	v_fmac_f32_e32 v86, v12, v50
	v_fmac_f32_e32 v23, v16, v46
	v_fma_f32 v16, v16, v47, -v17
	s_wait_dscnt 0x3
	v_mul_f32_e32 v87, v15, v53
	v_mul_f32_e32 v15, v15, v52
	v_fmac_f32_e32 v85, v18, v48
	v_fma_f32 v17, v18, v49, -v19
	v_fma_f32 v12, v12, v51, -v13
	v_add_f32_e32 v18, v45, v16
	v_fmac_f32_e32 v87, v14, v52
	v_fma_f32 v13, v14, v53, -v15
	v_add_f32_e32 v15, v44, v23
	global_wb scope:SCOPE_SE
	s_wait_dscnt 0x0
	s_barrier_signal -1
	s_barrier_wait -1
	global_inv scope:SCOPE_SE
	v_dual_mul_f32 v14, v7, v57 :: v_dual_mul_f32 v89, v5, v55
	v_mul_f32_e32 v19, v3, v61
	v_mul_f32_e32 v3, v3, v60
	s_delay_alu instid0(VALU_DEP_3) | instskip(SKIP_1) | instid1(VALU_DEP_4)
	v_dual_fmac_f32 v14, v6, v56 :: v_dual_fmac_f32 v89, v4, v54
	v_mul_f32_e32 v5, v5, v54
	v_fmac_f32_e32 v19, v2, v60
	s_delay_alu instid0(VALU_DEP_4) | instskip(SKIP_1) | instid1(VALU_DEP_4)
	v_fma_f32 v2, v2, v61, -v3
	v_mul_f32_e32 v3, v11, v21
	v_fma_f32 v4, v4, v55, -v5
	v_mul_f32_e32 v5, v7, v56
	v_add_f32_e32 v7, v15, v85
	v_dual_add_f32 v15, v18, v17 :: v_dual_mul_f32 v18, v1, v59
	v_mul_f32_e32 v1, v1, v58
	s_delay_alu instid0(VALU_DEP_4) | instskip(NEXT) | instid1(VALU_DEP_4)
	v_fma_f32 v5, v6, v57, -v5
	v_add_f32_e32 v6, v7, v86
	s_delay_alu instid0(VALU_DEP_4) | instskip(NEXT) | instid1(VALU_DEP_4)
	v_dual_add_f32 v7, v15, v12 :: v_dual_fmac_f32 v18, v0, v58
	v_fma_f32 v15, v0, v59, -v1
	v_fma_f32 v3, v10, v22, -v3
	s_delay_alu instid0(VALU_DEP_4) | instskip(SKIP_2) | instid1(VALU_DEP_2)
	v_add_f32_e32 v0, v6, v87
	v_mul_f32_e32 v6, v9, v63
	v_mul_f32_e32 v9, v9, v62
	v_dual_add_f32 v1, v7, v13 :: v_dual_fmac_f32 v6, v8, v62
	s_delay_alu instid0(VALU_DEP_2) | instskip(SKIP_2) | instid1(VALU_DEP_3)
	v_fma_f32 v8, v8, v63, -v9
	v_sub_f32_e32 v9, v16, v3
	v_mul_f32_e32 v7, v11, v22
	v_dual_add_f32 v11, v16, v3 :: v_dual_sub_f32 v58, v17, v8
	s_delay_alu instid0(VALU_DEP_3) | instskip(NEXT) | instid1(VALU_DEP_2)
	v_mul_f32_e32 v48, 0xbf7d64f0, v9
	v_dual_mul_f32 v50, 0xbe11bafb, v11 :: v_dual_fmac_f32 v7, v10, v21
	s_delay_alu instid0(VALU_DEP_1) | instskip(NEXT) | instid1(VALU_DEP_1)
	v_sub_f32_e32 v21, v23, v7
	v_fmamk_f32 v52, v21, 0x3f7d64f0, v50
	v_add_f32_e32 v10, v23, v7
	v_add_f32_e32 v0, v0, v89
	s_delay_alu instid0(VALU_DEP_2) | instskip(NEXT) | instid1(VALU_DEP_2)
	v_dual_add_f32 v52, v45, v52 :: v_dual_fmamk_f32 v51, v10, 0xbe11bafb, v48
	v_add_f32_e32 v0, v0, v14
	v_fma_f32 v48, 0xbe11bafb, v10, -v48
	v_mul_f32_e32 v16, 0xbf0a6770, v9
	s_delay_alu instid0(VALU_DEP_3) | instskip(NEXT) | instid1(VALU_DEP_3)
	v_add_f32_e32 v0, v0, v18
	v_add_f32_e32 v48, v44, v48
	v_fmac_f32_e32 v50, 0xbf7d64f0, v21
	s_delay_alu instid0(VALU_DEP_3) | instskip(NEXT) | instid1(VALU_DEP_2)
	v_add_f32_e32 v0, v0, v19
	v_add_f32_e32 v50, v45, v50
	v_mul_f32_e32 v54, 0xbf27a4f4, v11
	v_add_f32_e32 v51, v44, v51
	s_delay_alu instid0(VALU_DEP_4) | instskip(SKIP_1) | instid1(VALU_DEP_4)
	v_dual_add_f32 v0, v0, v6 :: v_dual_mul_f32 v47, 0x3ed4b147, v11
	v_mul_f32_e32 v22, 0x3f575c64, v11
	v_fmamk_f32 v56, v21, 0x3f4178ce, v54
	s_delay_alu instid0(VALU_DEP_3) | instskip(SKIP_2) | instid1(VALU_DEP_3)
	v_dual_fmamk_f32 v23, v10, 0x3f575c64, v16 :: v_dual_add_f32 v0, v0, v7
	v_add_f32_e32 v1, v1, v4
	v_fma_f32 v16, 0x3f575c64, v10, -v16
	v_dual_add_f32 v56, v45, v56 :: v_dual_add_f32 v23, v44, v23
	v_fmac_f32_e32 v54, 0xbf4178ce, v21
	s_delay_alu instid0(VALU_DEP_3) | instskip(NEXT) | instid1(VALU_DEP_2)
	v_dual_add_f32 v1, v1, v5 :: v_dual_add_f32 v16, v44, v16
	v_dual_mul_f32 v53, 0xbf4178ce, v9 :: v_dual_add_f32 v54, v45, v54
	s_delay_alu instid0(VALU_DEP_2) | instskip(NEXT) | instid1(VALU_DEP_2)
	v_add_f32_e32 v1, v1, v15
	v_fmamk_f32 v55, v10, 0xbf27a4f4, v53
	v_fma_f32 v53, 0xbf27a4f4, v10, -v53
	s_delay_alu instid0(VALU_DEP_3) | instskip(NEXT) | instid1(VALU_DEP_1)
	v_add_f32_e32 v1, v1, v2
	v_add_f32_e32 v1, v1, v8
	v_dual_add_f32 v8, v17, v8 :: v_dual_mul_f32 v17, 0xbf68dda4, v58
	v_fmamk_f32 v49, v21, 0x3f68dda4, v47
	v_fmac_f32_e32 v47, 0xbf68dda4, v21
	s_delay_alu instid0(VALU_DEP_4) | instskip(SKIP_2) | instid1(VALU_DEP_2)
	v_add_f32_e32 v1, v1, v3
	v_mul_f32_e32 v3, 0xbf68dda4, v9
	v_mul_f32_e32 v9, 0xbe903f40, v9
	v_fmamk_f32 v46, v10, 0x3ed4b147, v3
	v_fma_f32 v3, 0x3ed4b147, v10, -v3
	s_delay_alu instid0(VALU_DEP_3)
	v_fmamk_f32 v57, v10, 0xbf75a155, v9
	v_fma_f32 v9, 0xbf75a155, v10, -v9
	v_add_f32_e32 v10, v85, v6
	v_dual_add_f32 v46, v44, v46 :: v_dual_fmamk_f32 v7, v21, 0x3f0a6770, v22
	v_fmac_f32_e32 v22, 0xbf0a6770, v21
	v_dual_mul_f32 v11, 0xbf75a155, v11 :: v_dual_sub_f32 v6, v85, v6
	s_delay_alu instid0(VALU_DEP_4) | instskip(NEXT) | instid1(VALU_DEP_3)
	v_dual_fmamk_f32 v60, v10, 0x3ed4b147, v17 :: v_dual_add_f32 v49, v45, v49
	v_add_f32_e32 v22, v45, v22
	s_delay_alu instid0(VALU_DEP_3)
	v_fmamk_f32 v59, v21, 0x3e903f40, v11
	v_fmac_f32_e32 v11, 0xbe903f40, v21
	v_mul_f32_e32 v21, 0x3ed4b147, v8
	v_add_f32_e32 v7, v45, v7
	v_add_f32_e32 v3, v44, v3
	;; [unrolled: 1-line block ×8, first 2 shown]
	v_fma_f32 v17, 0x3ed4b147, v10, -v17
	v_dual_mul_f32 v60, 0xbf27a4f4, v8 :: v_dual_add_f32 v47, v45, v47
	v_dual_add_f32 v55, v44, v55 :: v_dual_fmamk_f32 v44, v6, 0x3f68dda4, v21
	v_mul_f32_e32 v45, 0xbf4178ce, v58
	s_delay_alu instid0(VALU_DEP_4) | instskip(NEXT) | instid1(VALU_DEP_2)
	v_dual_fmac_f32 v21, 0xbf68dda4, v6 :: v_dual_add_f32 v16, v17, v16
	v_dual_add_f32 v7, v44, v7 :: v_dual_fmamk_f32 v44, v10, 0xbf27a4f4, v45
	s_delay_alu instid0(VALU_DEP_2) | instskip(SKIP_2) | instid1(VALU_DEP_4)
	v_add_f32_e32 v17, v21, v22
	v_mul_f32_e32 v21, 0x3e903f40, v58
	v_fma_f32 v45, 0xbf27a4f4, v10, -v45
	v_add_f32_e32 v22, v44, v46
	v_fmamk_f32 v44, v6, 0x3f4178ce, v60
	s_delay_alu instid0(VALU_DEP_4) | instskip(SKIP_2) | instid1(VALU_DEP_4)
	v_fmamk_f32 v46, v10, 0xbf75a155, v21
	v_fma_f32 v21, 0xbf75a155, v10, -v21
	v_fmac_f32_e32 v60, 0xbf4178ce, v6
	v_add_f32_e32 v44, v44, v49
	s_delay_alu instid0(VALU_DEP_4) | instskip(NEXT) | instid1(VALU_DEP_1)
	v_dual_add_f32 v46, v46, v51 :: v_dual_mul_f32 v51, 0xbe11bafb, v8
	v_dual_add_f32 v21, v21, v48 :: v_dual_fmamk_f32 v48, v6, 0xbf7d64f0, v51
	s_delay_alu instid0(VALU_DEP_1)
	v_dual_fmac_f32 v51, 0x3f7d64f0, v6 :: v_dual_add_f32 v48, v48, v56
	v_add_f32_e32 v56, v86, v19
	v_add_f32_e32 v3, v45, v3
	;; [unrolled: 1-line block ×3, first 2 shown]
	v_mul_f32_e32 v61, 0xbf75a155, v8
	v_mul_f32_e32 v8, 0x3f575c64, v8
	s_delay_alu instid0(VALU_DEP_2) | instskip(NEXT) | instid1(VALU_DEP_1)
	v_fmamk_f32 v47, v6, 0xbe903f40, v61
	v_add_f32_e32 v47, v47, v52
	v_mul_f32_e32 v49, 0x3f7d64f0, v58
	v_mul_f32_e32 v58, 0x3f0a6770, v58
	s_delay_alu instid0(VALU_DEP_2) | instskip(SKIP_1) | instid1(VALU_DEP_1)
	v_fmamk_f32 v52, v10, 0xbe11bafb, v49
	v_fma_f32 v49, 0xbe11bafb, v10, -v49
	v_dual_add_f32 v52, v52, v55 :: v_dual_add_f32 v49, v49, v53
	v_sub_f32_e32 v53, v12, v2
	v_dual_add_f32 v2, v12, v2 :: v_dual_fmamk_f32 v55, v10, 0x3f575c64, v58
	v_add_f32_e32 v51, v51, v54
	v_fma_f32 v10, 0x3f575c64, v10, -v58
	s_delay_alu instid0(VALU_DEP_3) | instskip(NEXT) | instid1(VALU_DEP_4)
	v_mul_f32_e32 v58, 0x3f575c64, v2
	v_dual_add_f32 v54, v55, v57 :: v_dual_fmamk_f32 v55, v6, 0xbf0a6770, v8
	v_mul_f32_e32 v57, 0xbf7d64f0, v53
	s_delay_alu instid0(VALU_DEP_4) | instskip(NEXT) | instid1(VALU_DEP_3)
	v_dual_fmac_f32 v8, 0x3f0a6770, v6 :: v_dual_add_f32 v9, v10, v9
	v_add_f32_e32 v55, v55, v59
	v_dual_fmac_f32 v61, 0x3e903f40, v6 :: v_dual_sub_f32 v6, v86, v19
	s_delay_alu instid0(VALU_DEP_4) | instskip(NEXT) | instid1(VALU_DEP_4)
	v_dual_fmamk_f32 v12, v56, 0xbe11bafb, v57 :: v_dual_mul_f32 v19, 0xbe11bafb, v2
	v_add_f32_e32 v8, v8, v11
	s_delay_alu instid0(VALU_DEP_3) | instskip(NEXT) | instid1(VALU_DEP_3)
	v_add_f32_e32 v50, v61, v50
	v_dual_add_f32 v10, v12, v23 :: v_dual_fmamk_f32 v11, v6, 0x3f7d64f0, v19
	v_fma_f32 v23, 0xbe11bafb, v56, -v57
	v_fmac_f32_e32 v19, 0xbf7d64f0, v6
	v_mul_f32_e32 v57, 0xbf75a155, v2
	v_mul_f32_e32 v12, 0x3e903f40, v53
	s_delay_alu instid0(VALU_DEP_4) | instskip(NEXT) | instid1(VALU_DEP_4)
	v_add_f32_e32 v16, v23, v16
	v_add_f32_e32 v17, v19, v17
	s_delay_alu instid0(VALU_DEP_4) | instskip(SKIP_2) | instid1(VALU_DEP_3)
	v_fmamk_f32 v19, v6, 0xbe903f40, v57
	v_mul_f32_e32 v23, 0x3f68dda4, v53
	v_fmac_f32_e32 v57, 0x3e903f40, v6
	v_dual_add_f32 v19, v19, v44 :: v_dual_mul_f32 v44, 0x3ed4b147, v2
	v_dual_mul_f32 v2, 0xbf27a4f4, v2 :: v_dual_add_f32 v7, v11, v7
	v_fmamk_f32 v11, v56, 0xbf75a155, v12
	v_fma_f32 v12, 0xbf75a155, v56, -v12
	s_delay_alu instid0(VALU_DEP_2) | instskip(NEXT) | instid1(VALU_DEP_2)
	v_dual_add_f32 v11, v11, v22 :: v_dual_fmamk_f32 v22, v56, 0x3ed4b147, v23
	v_dual_add_f32 v3, v12, v3 :: v_dual_add_f32 v12, v57, v45
	v_mul_f32_e32 v45, 0xbf0a6770, v53
	v_fma_f32 v23, 0x3ed4b147, v56, -v23
	s_delay_alu instid0(VALU_DEP_4)
	v_add_f32_e32 v22, v22, v46
	v_fmamk_f32 v46, v6, 0xbf68dda4, v44
	v_fmac_f32_e32 v44, 0x3f68dda4, v6
	v_fmamk_f32 v57, v56, 0x3f575c64, v45
	v_add_f32_e32 v21, v23, v21
	v_fma_f32 v45, 0x3f575c64, v56, -v45
	s_delay_alu instid0(VALU_DEP_4) | instskip(NEXT) | instid1(VALU_DEP_4)
	v_dual_add_f32 v46, v46, v47 :: v_dual_add_f32 v23, v44, v50
	v_dual_add_f32 v44, v57, v52 :: v_dual_fmamk_f32 v47, v6, 0x3f0a6770, v58
	v_fmamk_f32 v52, v6, 0x3f4178ce, v2
	v_mul_f32_e32 v50, 0xbf4178ce, v53
	v_fmac_f32_e32 v58, 0xbf0a6770, v6
	v_fmac_f32_e32 v2, 0xbf4178ce, v6
	v_sub_f32_e32 v6, v87, v18
	s_delay_alu instid0(VALU_DEP_4) | instskip(SKIP_3) | instid1(VALU_DEP_4)
	v_dual_add_f32 v47, v47, v48 :: v_dual_fmamk_f32 v48, v56, 0xbf27a4f4, v50
	v_dual_add_f32 v45, v45, v49 :: v_dual_add_f32 v52, v52, v55
	v_fma_f32 v50, 0xbf27a4f4, v56, -v50
	v_add_f32_e32 v2, v2, v8
	v_add_f32_e32 v48, v48, v54
	;; [unrolled: 1-line block ×4, first 2 shown]
	v_sub_f32_e32 v51, v13, v15
	v_add_f32_e32 v13, v13, v15
	v_add_f32_e32 v9, v50, v9
	s_delay_alu instid0(VALU_DEP_3) | instskip(NEXT) | instid1(VALU_DEP_3)
	v_mul_f32_e32 v15, 0xbf4178ce, v51
	v_mul_f32_e32 v18, 0xbf27a4f4, v13
	s_delay_alu instid0(VALU_DEP_2) | instskip(NEXT) | instid1(VALU_DEP_2)
	v_fmamk_f32 v54, v53, 0xbf27a4f4, v15
	v_fmamk_f32 v50, v6, 0x3f4178ce, v18
	v_fma_f32 v15, 0xbf27a4f4, v53, -v15
	v_fmac_f32_e32 v18, 0xbf4178ce, v6
	s_delay_alu instid0(VALU_DEP_4) | instskip(NEXT) | instid1(VALU_DEP_4)
	v_add_f32_e32 v10, v54, v10
	v_dual_add_f32 v7, v50, v7 :: v_dual_mul_f32 v50, 0xbe11bafb, v13
	s_delay_alu instid0(VALU_DEP_3) | instskip(SKIP_1) | instid1(VALU_DEP_3)
	v_dual_add_f32 v15, v15, v16 :: v_dual_add_f32 v16, v18, v17
	v_mul_f32_e32 v17, 0xbf0a6770, v51
	v_fmamk_f32 v18, v6, 0xbf7d64f0, v50
	v_fmac_f32_e32 v50, 0x3f7d64f0, v6
	s_delay_alu instid0(VALU_DEP_3) | instskip(SKIP_1) | instid1(VALU_DEP_4)
	v_fmamk_f32 v55, v53, 0x3f575c64, v17
	v_fma_f32 v17, 0x3f575c64, v53, -v17
	v_add_f32_e32 v18, v18, v19
	s_delay_alu instid0(VALU_DEP_3) | instskip(NEXT) | instid1(VALU_DEP_3)
	v_dual_add_f32 v12, v50, v12 :: v_dual_add_f32 v19, v55, v22
	v_dual_mul_f32 v22, 0xbe903f40, v51 :: v_dual_add_f32 v17, v17, v21
	s_delay_alu instid0(VALU_DEP_1) | instskip(SKIP_1) | instid1(VALU_DEP_2)
	v_fmamk_f32 v50, v53, 0xbf75a155, v22
	v_fma_f32 v22, 0xbf75a155, v53, -v22
	v_add_f32_e32 v44, v50, v44
	s_delay_alu instid0(VALU_DEP_2) | instskip(SKIP_1) | instid1(VALU_DEP_1)
	v_add_f32_e32 v22, v22, v45
	v_mul_f32_e32 v8, 0x3f7d64f0, v51
	v_fmamk_f32 v54, v53, 0xbe11bafb, v8
	v_fma_f32 v8, 0xbe11bafb, v53, -v8
	s_delay_alu instid0(VALU_DEP_2) | instskip(NEXT) | instid1(VALU_DEP_1)
	v_dual_add_f32 v11, v54, v11 :: v_dual_mul_f32 v54, 0x3f575c64, v13
	v_dual_add_f32 v8, v8, v3 :: v_dual_fmamk_f32 v3, v6, 0x3f0a6770, v54
	v_fmac_f32_e32 v54, 0xbf0a6770, v6
	s_delay_alu instid0(VALU_DEP_1) | instskip(SKIP_1) | instid1(VALU_DEP_1)
	v_dual_add_f32 v46, v3, v46 :: v_dual_add_f32 v21, v54, v23
	v_mul_f32_e32 v23, 0x3f68dda4, v51
	v_fmamk_f32 v50, v53, 0x3ed4b147, v23
	s_delay_alu instid0(VALU_DEP_1)
	v_add_f32_e32 v48, v50, v48
	v_add_f32_e32 v50, v4, v5
	v_mul_f32_e32 v3, 0xbf75a155, v13
	v_mul_f32_e32 v13, 0x3ed4b147, v13
	v_fma_f32 v23, 0x3ed4b147, v53, -v23
	v_sub_f32_e32 v53, v89, v14
	s_delay_alu instid0(VALU_DEP_4) | instskip(SKIP_1) | instid1(VALU_DEP_4)
	v_fmamk_f32 v51, v6, 0x3e903f40, v3
	v_fmac_f32_e32 v3, 0xbe903f40, v6
	v_add_f32_e32 v23, v23, v9
	s_delay_alu instid0(VALU_DEP_3) | instskip(NEXT) | instid1(VALU_DEP_3)
	v_add_f32_e32 v47, v51, v47
	v_add_f32_e32 v45, v3, v49
	;; [unrolled: 1-line block ×3, first 2 shown]
	v_sub_f32_e32 v49, v4, v5
	v_fmamk_f32 v3, v6, 0xbf68dda4, v13
	v_fmac_f32_e32 v13, 0x3f68dda4, v6
	v_mul_f32_e32 v5, 0xbf75a155, v50
	v_mul_f32_e32 v14, 0xbf27a4f4, v50
	v_mul_f32_e32 v4, 0xbe903f40, v49
	v_add_f32_e32 v52, v3, v52
	v_add_f32_e32 v54, v13, v2
	v_fmamk_f32 v6, v53, 0x3e903f40, v5
	v_fmac_f32_e32 v5, 0xbe903f40, v53
	v_fmamk_f32 v3, v51, 0xbf75a155, v4
	v_fma_f32 v4, 0xbf75a155, v51, -v4
	s_delay_alu instid0(VALU_DEP_2) | instskip(NEXT) | instid1(VALU_DEP_2)
	v_dual_add_f32 v5, v5, v16 :: v_dual_add_f32 v2, v3, v10
	v_dual_add_f32 v4, v4, v15 :: v_dual_mul_f32 v15, 0x3f68dda4, v49
	v_dual_add_f32 v3, v6, v7 :: v_dual_mul_f32 v10, 0x3f575c64, v50
	s_delay_alu instid0(VALU_DEP_2) | instskip(SKIP_2) | instid1(VALU_DEP_4)
	v_fmamk_f32 v16, v51, 0x3ed4b147, v15
	v_mul_f32_e32 v9, 0x3f0a6770, v49
	v_mul_f32_e32 v13, 0xbf4178ce, v49
	v_fmamk_f32 v7, v53, 0xbf0a6770, v10
	v_fmac_f32_e32 v10, 0x3f0a6770, v53
	s_delay_alu instid0(VALU_DEP_4) | instskip(SKIP_1) | instid1(VALU_DEP_4)
	v_fmamk_f32 v6, v51, 0x3f575c64, v9
	v_fma_f32 v9, 0x3f575c64, v51, -v9
	v_add_f32_e32 v7, v7, v18
	v_mul_f32_e32 v18, 0x3ed4b147, v50
	s_delay_alu instid0(VALU_DEP_4) | instskip(NEXT) | instid1(VALU_DEP_4)
	v_dual_add_f32 v6, v6, v11 :: v_dual_fmamk_f32 v11, v51, 0xbf27a4f4, v13
	v_add_f32_e32 v8, v9, v8
	s_delay_alu instid0(VALU_DEP_2) | instskip(SKIP_4) | instid1(VALU_DEP_4)
	v_dual_add_f32 v9, v10, v12 :: v_dual_add_f32 v10, v11, v19
	v_fmamk_f32 v11, v53, 0x3f4178ce, v14
	v_fmac_f32_e32 v14, 0xbf4178ce, v53
	v_fma_f32 v12, 0xbf27a4f4, v51, -v13
	v_fma_f32 v19, 0x3ed4b147, v51, -v15
	v_add_f32_e32 v11, v11, v46
	s_delay_alu instid0(VALU_DEP_4)
	v_add_f32_e32 v13, v14, v21
	v_mul_f32_e32 v21, 0xbf7d64f0, v49
	v_dual_add_f32 v12, v12, v17 :: v_dual_fmamk_f32 v17, v53, 0xbf68dda4, v18
	v_add_f32_e32 v14, v16, v44
	v_mul_f32_e32 v44, 0xbe11bafb, v50
	v_add_f32_e32 v16, v19, v22
	v_fmac_f32_e32 v18, 0x3f68dda4, v53
	v_fmamk_f32 v19, v51, 0xbe11bafb, v21
	v_add_f32_e32 v15, v17, v47
	v_fma_f32 v21, 0xbe11bafb, v51, -v21
	s_delay_alu instid0(VALU_DEP_3) | instskip(SKIP_1) | instid1(VALU_DEP_3)
	v_dual_add_f32 v17, v18, v45 :: v_dual_add_f32 v18, v19, v48
	v_fmamk_f32 v22, v53, 0x3f7d64f0, v44
	v_dual_fmac_f32 v44, 0xbf7d64f0, v53 :: v_dual_add_f32 v21, v21, v23
	s_delay_alu instid0(VALU_DEP_1)
	v_dual_add_f32 v19, v22, v52 :: v_dual_add_f32 v22, v44, v54
	ds_store_2addr_b64 v88, v[0:1], v[2:3] offset1:4
	ds_store_2addr_b64 v88, v[6:7], v[10:11] offset0:8 offset1:12
	ds_store_2addr_b64 v88, v[14:15], v[18:19] offset0:16 offset1:20
	;; [unrolled: 1-line block ×4, first 2 shown]
	ds_store_b64 v88, v[4:5] offset:320
	global_wb scope:SCOPE_SE
	s_wait_dscnt 0x0
	s_barrier_signal -1
	s_barrier_wait -1
	global_inv scope:SCOPE_SE
	ds_load_2addr_b64 v[0:3], v83 offset1:44
	ds_load_2addr_b64 v[4:7], v83 offset0:88 offset1:132
	ds_load_2addr_b64 v[8:11], v83 offset0:176 offset1:220
	ds_load_2addr_b64 v[12:15], v20 offset0:8 offset1:52
	ds_load_2addr_b64 v[16:19], v20 offset0:96 offset1:140
	ds_load_b64 v[21:22], v83 offset:3520
	s_wait_dscnt 0x4
	v_dual_mul_f32 v23, v41, v3 :: v_dual_mul_f32 v44, v43, v5
	v_mul_f32_e32 v41, v41, v2
	v_mul_f32_e32 v43, v43, v4
	s_delay_alu instid0(VALU_DEP_3) | instskip(SKIP_1) | instid1(VALU_DEP_4)
	v_dual_fmac_f32 v23, v40, v2 :: v_dual_fmac_f32 v44, v42, v4
	v_mul_f32_e32 v4, v37, v7
	v_fma_f32 v2, v40, v3, -v41
	v_mul_f32_e32 v3, v37, v6
	s_wait_dscnt 0x3
	v_mul_f32_e32 v37, v39, v9
	v_dual_mul_f32 v39, v39, v8 :: v_dual_fmac_f32 v4, v36, v6
	v_mul_f32_e32 v6, v29, v11
	v_fma_f32 v7, v36, v7, -v3
	v_mul_f32_e32 v3, v29, v10
	v_fmac_f32_e32 v37, v38, v8
	v_fma_f32 v8, v38, v9, -v39
	v_fmac_f32_e32 v6, v28, v10
	v_add_f32_e32 v10, v0, v23
	v_fma_f32 v11, v28, v11, -v3
	s_wait_dscnt 0x2
	v_mul_f32_e32 v3, v31, v12
	v_dual_mul_f32 v9, v31, v13 :: v_dual_mul_f32 v28, v25, v15
	v_add_f32_e32 v10, v10, v44
	v_fma_f32 v5, v42, v5, -v43
	s_delay_alu instid0(VALU_DEP_4)
	v_fma_f32 v13, v30, v13, -v3
	v_mul_f32_e32 v3, v25, v14
	v_fmac_f32_e32 v9, v30, v12
	v_add_f32_e32 v10, v10, v4
	v_fmac_f32_e32 v28, v24, v14
	s_wait_dscnt 0x1
	v_mul_f32_e32 v14, v27, v17
	v_fma_f32 v15, v24, v15, -v3
	s_wait_dscnt 0x0
	v_dual_mul_f32 v24, v35, v22 :: v_dual_add_f32 v3, v10, v37
	s_delay_alu instid0(VALU_DEP_3) | instskip(NEXT) | instid1(VALU_DEP_2)
	v_fmac_f32_e32 v14, v26, v16
	v_dual_fmac_f32 v24, v34, v21 :: v_dual_add_f32 v3, v3, v6
	s_delay_alu instid0(VALU_DEP_1) | instskip(NEXT) | instid1(VALU_DEP_1)
	v_add_f32_e32 v3, v3, v9
	v_add_f32_e32 v3, v3, v28
	s_delay_alu instid0(VALU_DEP_1) | instskip(SKIP_1) | instid1(VALU_DEP_1)
	v_add_f32_e32 v3, v3, v14
	v_add_f32_e32 v29, v1, v2
	;; [unrolled: 1-line block ×3, first 2 shown]
	s_delay_alu instid0(VALU_DEP_1) | instskip(NEXT) | instid1(VALU_DEP_1)
	v_add_f32_e32 v12, v12, v7
	v_add_f32_e32 v10, v12, v8
	v_mul_f32_e32 v12, v27, v16
	v_mul_f32_e32 v16, v33, v19
	s_delay_alu instid0(VALU_DEP_3) | instskip(NEXT) | instid1(VALU_DEP_3)
	v_add_f32_e32 v10, v10, v11
	v_fma_f32 v12, v26, v17, -v12
	s_delay_alu instid0(VALU_DEP_3) | instskip(SKIP_1) | instid1(VALU_DEP_4)
	v_dual_mul_f32 v17, v35, v21 :: v_dual_fmac_f32 v16, v32, v18
	v_mul_f32_e32 v18, v33, v18
	v_add_f32_e32 v10, v10, v13
	s_delay_alu instid0(VALU_DEP_3) | instskip(NEXT) | instid1(VALU_DEP_3)
	v_fma_f32 v17, v34, v22, -v17
	v_fma_f32 v18, v32, v19, -v18
	s_delay_alu instid0(VALU_DEP_3) | instskip(NEXT) | instid1(VALU_DEP_3)
	v_add_f32_e32 v10, v10, v15
	v_add_f32_e32 v25, v2, v17
	s_delay_alu instid0(VALU_DEP_3) | instskip(NEXT) | instid1(VALU_DEP_3)
	v_dual_add_f32 v19, v23, v24 :: v_dual_sub_f32 v42, v5, v18
	v_dual_add_f32 v10, v10, v12 :: v_dual_add_f32 v5, v5, v18
	s_delay_alu instid0(VALU_DEP_3) | instskip(SKIP_2) | instid1(VALU_DEP_2)
	v_mul_f32_e32 v38, 0xbf27a4f4, v25
	v_sub_f32_e32 v21, v2, v17
	v_add_f32_e32 v43, v44, v16
	v_mul_f32_e32 v31, 0xbf7d64f0, v21
	s_delay_alu instid0(VALU_DEP_1) | instskip(SKIP_3) | instid1(VALU_DEP_4)
	v_fmamk_f32 v32, v19, 0xbe11bafb, v31
	v_mul_f32_e32 v34, 0xbf4178ce, v21
	v_mul_f32_e32 v22, 0xbf0a6770, v21
	v_fma_f32 v31, 0xbe11bafb, v19, -v31
	v_add_f32_e32 v32, v0, v32
	v_add_f32_e32 v2, v3, v16
	v_dual_fmamk_f32 v36, v19, 0xbf27a4f4, v34 :: v_dual_add_f32 v3, v10, v18
	v_dual_sub_f32 v10, v23, v24 :: v_dual_mul_f32 v27, 0x3ed4b147, v25
	v_mul_f32_e32 v26, 0x3f575c64, v25
	s_delay_alu instid0(VALU_DEP_4)
	v_add_f32_e32 v2, v2, v24
	v_mul_f32_e32 v24, 0xbf68dda4, v21
	v_fma_f32 v34, 0xbf27a4f4, v19, -v34
	v_fmamk_f32 v30, v10, 0x3f68dda4, v27
	v_fmamk_f32 v23, v19, 0x3f575c64, v22
	v_fma_f32 v22, 0x3f575c64, v19, -v22
	v_dual_fmamk_f32 v29, v19, 0x3ed4b147, v24 :: v_dual_add_f32 v36, v0, v36
	s_delay_alu instid0(VALU_DEP_4) | instskip(NEXT) | instid1(VALU_DEP_3)
	v_dual_add_f32 v30, v1, v30 :: v_dual_mul_f32 v21, 0xbe903f40, v21
	v_dual_add_f32 v3, v3, v17 :: v_dual_add_f32 v22, v0, v22
	v_mul_f32_e32 v33, 0xbe11bafb, v25
	v_fmamk_f32 v39, v10, 0x3f4178ce, v38
	v_mul_f32_e32 v25, 0xbf75a155, v25
	v_fmac_f32_e32 v38, 0xbf4178ce, v10
	v_fmamk_f32 v40, v19, 0xbf75a155, v21
	v_add_f32_e32 v34, v0, v34
	v_add_f32_e32 v17, v0, v23
	s_delay_alu instid0(VALU_DEP_4) | instskip(SKIP_2) | instid1(VALU_DEP_3)
	v_dual_fmamk_f32 v23, v10, 0x3f0a6770, v26 :: v_dual_add_f32 v38, v1, v38
	v_dual_fmac_f32 v26, 0xbf0a6770, v10 :: v_dual_add_f32 v31, v0, v31
	v_fmac_f32_e32 v27, 0xbf68dda4, v10
	v_dual_add_f32 v23, v1, v23 :: v_dual_add_f32 v40, v0, v40
	s_delay_alu instid0(VALU_DEP_3)
	v_dual_add_f32 v26, v1, v26 :: v_dual_fmamk_f32 v35, v10, 0x3f7d64f0, v33
	v_fmac_f32_e32 v33, 0xbf7d64f0, v10
	v_fmamk_f32 v41, v10, 0x3e903f40, v25
	v_mul_f32_e32 v18, 0xbf68dda4, v42
	v_dual_fmac_f32 v25, 0xbe903f40, v10 :: v_dual_sub_f32 v10, v44, v16
	v_add_f32_e32 v29, v0, v29
	v_fma_f32 v24, 0x3ed4b147, v19, -v24
	v_fma_f32 v19, 0xbf75a155, v19, -v21
	v_fmamk_f32 v21, v43, 0x3ed4b147, v18
	v_fma_f32 v18, 0x3ed4b147, v43, -v18
	v_dual_mul_f32 v16, 0x3ed4b147, v5 :: v_dual_add_f32 v35, v1, v35
	v_add_f32_e32 v33, v1, v33
	s_delay_alu instid0(VALU_DEP_3) | instskip(SKIP_3) | instid1(VALU_DEP_3)
	v_dual_add_f32 v39, v1, v39 :: v_dual_add_f32 v18, v18, v22
	v_dual_mul_f32 v22, 0x3e903f40, v42 :: v_dual_add_f32 v41, v1, v41
	v_add_f32_e32 v24, v0, v24
	v_dual_add_f32 v0, v0, v19 :: v_dual_mul_f32 v19, 0xbf4178ce, v42
	v_fmamk_f32 v44, v43, 0xbf75a155, v22
	v_fma_f32 v22, 0xbf75a155, v43, -v22
	v_add_f32_e32 v17, v21, v17
	s_delay_alu instid0(VALU_DEP_4) | instskip(SKIP_1) | instid1(VALU_DEP_4)
	v_fmamk_f32 v21, v43, 0xbf27a4f4, v19
	v_fma_f32 v19, 0xbf27a4f4, v43, -v19
	v_add_f32_e32 v22, v22, v31
	v_add_f32_e32 v27, v1, v27
	;; [unrolled: 1-line block ×3, first 2 shown]
	v_fmamk_f32 v25, v10, 0x3f68dda4, v16
	v_dual_fmac_f32 v16, 0xbf68dda4, v10 :: v_dual_add_f32 v21, v21, v29
	v_add_f32_e32 v19, v19, v24
	v_mul_f32_e32 v31, 0x3f0a6770, v42
	s_delay_alu instid0(VALU_DEP_4) | instskip(NEXT) | instid1(VALU_DEP_4)
	v_add_f32_e32 v23, v25, v23
	v_dual_mul_f32 v25, 0xbf27a4f4, v5 :: v_dual_add_f32 v16, v16, v26
	s_delay_alu instid0(VALU_DEP_1) | instskip(SKIP_1) | instid1(VALU_DEP_2)
	v_fmamk_f32 v26, v10, 0x3f4178ce, v25
	v_fmac_f32_e32 v25, 0xbf4178ce, v10
	v_add_f32_e32 v26, v26, v30
	s_delay_alu instid0(VALU_DEP_2) | instskip(SKIP_2) | instid1(VALU_DEP_3)
	v_dual_add_f32 v24, v25, v27 :: v_dual_mul_f32 v29, 0xbf75a155, v5
	v_dual_mul_f32 v30, 0x3f7d64f0, v42 :: v_dual_add_f32 v27, v44, v32
	v_mul_f32_e32 v32, 0xbe11bafb, v5
	v_fmamk_f32 v25, v10, 0xbe903f40, v29
	s_delay_alu instid0(VALU_DEP_1) | instskip(NEXT) | instid1(VALU_DEP_4)
	v_add_f32_e32 v25, v25, v35
	v_fmamk_f32 v35, v43, 0xbe11bafb, v30
	v_fma_f32 v30, 0xbe11bafb, v43, -v30
	s_delay_alu instid0(VALU_DEP_2) | instskip(SKIP_1) | instid1(VALU_DEP_3)
	v_add_f32_e32 v35, v35, v36
	v_fmamk_f32 v36, v43, 0x3f575c64, v31
	v_dual_add_f32 v30, v30, v34 :: v_dual_mul_f32 v5, 0x3f575c64, v5
	v_fma_f32 v31, 0x3f575c64, v43, -v31
	s_delay_alu instid0(VALU_DEP_3) | instskip(SKIP_4) | instid1(VALU_DEP_3)
	v_add_f32_e32 v34, v36, v40
	v_sub_f32_e32 v36, v7, v12
	v_dual_add_f32 v7, v7, v12 :: v_dual_add_f32 v12, v4, v14
	v_sub_f32_e32 v4, v4, v14
	v_add_f32_e32 v0, v31, v0
	v_mul_f32_e32 v40, 0x3ed4b147, v7
	v_fmac_f32_e32 v29, 0x3e903f40, v10
	s_delay_alu instid0(VALU_DEP_1) | instskip(SKIP_1) | instid1(VALU_DEP_1)
	v_add_f32_e32 v29, v29, v33
	v_fmamk_f32 v33, v10, 0xbf7d64f0, v32
	v_dual_fmac_f32 v32, 0x3f7d64f0, v10 :: v_dual_add_f32 v33, v33, v39
	s_delay_alu instid0(VALU_DEP_1) | instskip(SKIP_4) | instid1(VALU_DEP_4)
	v_add_f32_e32 v32, v32, v38
	v_fmamk_f32 v38, v10, 0xbf0a6770, v5
	v_mul_f32_e32 v39, 0xbf7d64f0, v36
	v_fmac_f32_e32 v5, 0x3f0a6770, v10
	v_mul_f32_e32 v10, 0xbe11bafb, v7
	v_add_f32_e32 v14, v38, v41
	s_delay_alu instid0(VALU_DEP_3) | instskip(NEXT) | instid1(VALU_DEP_3)
	v_dual_fmamk_f32 v38, v12, 0xbe11bafb, v39 :: v_dual_add_f32 v1, v5, v1
	v_fmamk_f32 v5, v4, 0x3f7d64f0, v10
	s_delay_alu instid0(VALU_DEP_2) | instskip(SKIP_1) | instid1(VALU_DEP_2)
	v_dual_fmac_f32 v10, 0xbf7d64f0, v4 :: v_dual_add_f32 v17, v38, v17
	v_fma_f32 v38, 0xbe11bafb, v12, -v39
	v_dual_add_f32 v5, v5, v23 :: v_dual_add_f32 v10, v10, v16
	v_mul_f32_e32 v31, 0x3e903f40, v36
	v_mul_f32_e32 v16, 0x3f68dda4, v36
	s_delay_alu instid0(VALU_DEP_4) | instskip(NEXT) | instid1(VALU_DEP_3)
	v_dual_mul_f32 v39, 0xbf75a155, v7 :: v_dual_add_f32 v18, v38, v18
	v_fmamk_f32 v23, v12, 0xbf75a155, v31
	s_delay_alu instid0(VALU_DEP_3) | instskip(SKIP_2) | instid1(VALU_DEP_2)
	v_fmamk_f32 v38, v12, 0x3ed4b147, v16
	v_fma_f32 v16, 0x3ed4b147, v12, -v16
	v_fma_f32 v31, 0xbf75a155, v12, -v31
	v_dual_add_f32 v21, v23, v21 :: v_dual_add_f32 v16, v16, v22
	v_fmamk_f32 v23, v4, 0xbe903f40, v39
	s_delay_alu instid0(VALU_DEP_3) | instskip(SKIP_1) | instid1(VALU_DEP_3)
	v_add_f32_e32 v19, v31, v19
	v_mul_f32_e32 v31, 0xbf0a6770, v36
	v_dual_mul_f32 v36, 0xbf4178ce, v36 :: v_dual_add_f32 v23, v23, v26
	v_dual_add_f32 v26, v38, v27 :: v_dual_fmamk_f32 v27, v4, 0xbf68dda4, v40
	v_fmac_f32_e32 v40, 0x3f68dda4, v4
	s_delay_alu instid0(VALU_DEP_2) | instskip(SKIP_2) | instid1(VALU_DEP_4)
	v_dual_mul_f32 v38, 0x3f575c64, v7 :: v_dual_add_f32 v25, v27, v25
	v_fmamk_f32 v27, v12, 0x3f575c64, v31
	v_fma_f32 v31, 0x3f575c64, v12, -v31
	v_add_f32_e32 v22, v40, v29
	s_delay_alu instid0(VALU_DEP_2) | instskip(SKIP_1) | instid1(VALU_DEP_1)
	v_dual_add_f32 v30, v31, v30 :: v_dual_fmamk_f32 v29, v4, 0x3f0a6770, v38
	v_fmac_f32_e32 v38, 0xbf0a6770, v4
	v_dual_add_f32 v31, v38, v32 :: v_dual_sub_f32 v32, v8, v15
	v_add_f32_e32 v8, v8, v15
	v_add_f32_e32 v27, v27, v35
	;; [unrolled: 1-line block ×3, first 2 shown]
	s_delay_alu instid0(VALU_DEP_4) | instskip(SKIP_3) | instid1(VALU_DEP_4)
	v_mul_f32_e32 v15, 0xbf4178ce, v32
	v_add_f32_e32 v29, v29, v33
	v_fmamk_f32 v33, v12, 0xbf27a4f4, v36
	v_fma_f32 v12, 0xbf27a4f4, v12, -v36
	v_fmamk_f32 v36, v35, 0xbf27a4f4, v15
	v_fma_f32 v15, 0xbf27a4f4, v35, -v15
	s_delay_alu instid0(VALU_DEP_4) | instskip(NEXT) | instid1(VALU_DEP_4)
	v_add_f32_e32 v33, v33, v34
	v_dual_mul_f32 v7, 0xbf27a4f4, v7 :: v_dual_add_f32 v0, v12, v0
	s_delay_alu instid0(VALU_DEP_4) | instskip(SKIP_1) | instid1(VALU_DEP_3)
	v_dual_fmac_f32 v39, 0x3e903f40, v4 :: v_dual_add_f32 v12, v36, v17
	v_mul_f32_e32 v17, 0x3f7d64f0, v32
	v_dual_fmamk_f32 v34, v4, 0x3f4178ce, v7 :: v_dual_add_f32 v15, v15, v18
	v_fmac_f32_e32 v7, 0xbf4178ce, v4
	v_sub_f32_e32 v4, v37, v28
	v_mul_f32_e32 v28, 0xbf27a4f4, v8
	s_delay_alu instid0(VALU_DEP_4)
	v_add_f32_e32 v14, v34, v14
	v_fmamk_f32 v34, v35, 0xbe11bafb, v17
	v_add_f32_e32 v1, v7, v1
	v_fma_f32 v17, 0xbe11bafb, v35, -v17
	v_fmamk_f32 v7, v4, 0x3f4178ce, v28
	v_fmac_f32_e32 v28, 0xbf4178ce, v4
	v_mul_f32_e32 v18, 0xbf0a6770, v32
	s_delay_alu instid0(VALU_DEP_4) | instskip(NEXT) | instid1(VALU_DEP_4)
	v_dual_add_f32 v24, v39, v24 :: v_dual_add_f32 v17, v17, v19
	v_add_f32_e32 v5, v7, v5
	s_delay_alu instid0(VALU_DEP_4) | instskip(NEXT) | instid1(VALU_DEP_1)
	v_dual_mul_f32 v7, 0xbe11bafb, v8 :: v_dual_add_f32 v10, v28, v10
	v_fmamk_f32 v28, v4, 0xbf7d64f0, v7
	v_fmac_f32_e32 v7, 0x3f7d64f0, v4
	s_delay_alu instid0(VALU_DEP_1) | instskip(SKIP_3) | instid1(VALU_DEP_2)
	v_add_f32_e32 v19, v7, v24
	v_mul_f32_e32 v7, 0xbe903f40, v32
	v_dual_add_f32 v21, v34, v21 :: v_dual_fmamk_f32 v34, v35, 0x3f575c64, v18
	v_fma_f32 v18, 0x3f575c64, v35, -v18
	v_add_f32_e32 v24, v34, v26
	v_mul_f32_e32 v34, 0xbf75a155, v8
	s_delay_alu instid0(VALU_DEP_3) | instskip(NEXT) | instid1(VALU_DEP_2)
	v_add_f32_e32 v16, v18, v16
	v_fmamk_f32 v18, v4, 0x3e903f40, v34
	v_dual_fmamk_f32 v36, v35, 0xbf75a155, v7 :: v_dual_add_f32 v23, v28, v23
	v_mul_f32_e32 v28, 0x3f575c64, v8
	v_mul_f32_e32 v8, 0x3ed4b147, v8
	v_fma_f32 v7, 0xbf75a155, v35, -v7
	v_fmac_f32_e32 v34, 0xbe903f40, v4
	v_add_f32_e32 v18, v18, v29
	v_fmamk_f32 v26, v4, 0x3f0a6770, v28
	v_fmac_f32_e32 v28, 0xbf0a6770, v4
	v_dual_fmamk_f32 v29, v4, 0xbf68dda4, v8 :: v_dual_add_f32 v30, v7, v30
	s_delay_alu instid0(VALU_DEP_3) | instskip(NEXT) | instid1(VALU_DEP_3)
	v_dual_fmac_f32 v8, 0x3f68dda4, v4 :: v_dual_add_f32 v25, v26, v25
	v_add_f32_e32 v26, v28, v22
	v_dual_add_f32 v22, v36, v27 :: v_dual_mul_f32 v27, 0x3f68dda4, v32
	v_sub_f32_e32 v32, v11, v13
	v_add_f32_e32 v13, v11, v13
	s_delay_alu instid0(VALU_DEP_3) | instskip(NEXT) | instid1(VALU_DEP_3)
	v_dual_add_f32 v31, v34, v31 :: v_dual_fmamk_f32 v28, v35, 0x3ed4b147, v27
	v_mul_f32_e32 v7, 0xbe903f40, v32
	v_fma_f32 v11, 0x3ed4b147, v35, -v27
	v_sub_f32_e32 v27, v6, v9
	v_add_f32_e32 v35, v8, v1
	v_add_f32_e32 v28, v28, v33
	;; [unrolled: 1-line block ×3, first 2 shown]
	v_mul_f32_e32 v6, 0xbf75a155, v13
	v_add_f32_e32 v34, v11, v0
	v_mul_f32_e32 v8, 0x3f0a6770, v32
	s_delay_alu instid0(VALU_DEP_4) | instskip(NEXT) | instid1(VALU_DEP_4)
	v_fmamk_f32 v4, v33, 0xbf75a155, v7
	v_fmamk_f32 v1, v27, 0x3e903f40, v6
	v_fmac_f32_e32 v6, 0xbe903f40, v27
	s_delay_alu instid0(VALU_DEP_2) | instskip(NEXT) | instid1(VALU_DEP_2)
	v_dual_add_f32 v0, v4, v12 :: v_dual_add_f32 v1, v1, v5
	v_dual_add_f32 v5, v6, v10 :: v_dual_mul_f32 v10, 0xbf4178ce, v32
	v_fma_f32 v4, 0xbf75a155, v33, -v7
	v_mul_f32_e32 v36, 0xbf27a4f4, v13
	v_mul_f32_e32 v9, 0x3f575c64, v13
	s_delay_alu instid0(VALU_DEP_3) | instskip(SKIP_3) | instid1(VALU_DEP_4)
	v_dual_fmamk_f32 v11, v33, 0xbf27a4f4, v10 :: v_dual_add_f32 v4, v4, v15
	v_fma_f32 v15, 0xbf27a4f4, v33, -v10
	v_fmamk_f32 v7, v33, 0x3f575c64, v8
	v_fma_f32 v8, 0x3f575c64, v33, -v8
	v_dual_add_f32 v10, v11, v24 :: v_dual_add_f32 v29, v29, v14
	v_mul_f32_e32 v14, 0x3f68dda4, v32
	v_fmamk_f32 v12, v27, 0x3f4178ce, v36
	s_delay_alu instid0(VALU_DEP_4) | instskip(SKIP_2) | instid1(VALU_DEP_4)
	v_add_f32_e32 v8, v8, v17
	v_mul_f32_e32 v17, 0x3ed4b147, v13
	v_mul_f32_e32 v13, 0xbe11bafb, v13
	v_dual_fmac_f32 v36, 0xbf4178ce, v27 :: v_dual_add_f32 v11, v12, v25
	v_add_f32_e32 v12, v15, v16
	v_add_f32_e32 v6, v7, v21
	v_fmamk_f32 v7, v27, 0xbf0a6770, v9
	v_fmac_f32_e32 v9, 0x3f0a6770, v27
	v_fma_f32 v16, 0x3ed4b147, v33, -v14
	v_fmamk_f32 v15, v27, 0xbf68dda4, v17
	v_fmamk_f32 v21, v27, 0x3f7d64f0, v13
	v_fmac_f32_e32 v13, 0xbf7d64f0, v27
	v_add_f32_e32 v9, v9, v19
	v_fmamk_f32 v19, v33, 0x3ed4b147, v14
	v_add_f32_e32 v15, v15, v18
	v_fmac_f32_e32 v17, 0x3f68dda4, v27
	v_dual_add_f32 v7, v7, v23 :: v_dual_add_f32 v16, v16, v30
	s_delay_alu instid0(VALU_DEP_4) | instskip(NEXT) | instid1(VALU_DEP_3)
	v_dual_add_f32 v14, v19, v22 :: v_dual_mul_f32 v19, 0xbf7d64f0, v32
	v_add_f32_e32 v17, v17, v31
	s_delay_alu instid0(VALU_DEP_2) | instskip(SKIP_2) | instid1(VALU_DEP_3)
	v_fma_f32 v22, 0xbe11bafb, v33, -v19
	v_fmamk_f32 v18, v33, 0xbe11bafb, v19
	v_add_f32_e32 v19, v21, v29
	v_dual_add_f32 v21, v22, v34 :: v_dual_add_f32 v22, v13, v35
	v_add_f32_e32 v13, v36, v26
	v_mad_co_u64_u32 v[33:34], null, s6, v64, 0
	v_mad_co_u64_u32 v[35:36], null, s4, v84, 0
	v_add_f32_e32 v18, v18, v28
	s_delay_alu instid0(VALU_DEP_2) | instskip(NEXT) | instid1(VALU_DEP_1)
	v_mad_co_u64_u32 v[37:38], null, s7, v64, v[34:35]
	v_mad_co_u64_u32 v[38:39], null, s5, v84, v[36:37]
	v_mov_b32_e32 v34, v37
	s_delay_alu instid0(VALU_DEP_1) | instskip(NEXT) | instid1(VALU_DEP_3)
	v_lshlrev_b64_e32 v[33:34], 3, v[33:34]
	v_mov_b32_e32 v36, v38
	ds_store_2addr_b64 v83, v[2:3], v[0:1] offset1:44
	ds_store_2addr_b64 v83, v[6:7], v[10:11] offset0:88 offset1:132
	ds_store_2addr_b64 v83, v[14:15], v[18:19] offset0:176 offset1:220
	;; [unrolled: 1-line block ×4, first 2 shown]
	ds_store_b64 v83, v[4:5] offset:3520
	global_wb scope:SCOPE_SE
	s_wait_dscnt 0x0
	s_barrier_signal -1
	s_barrier_wait -1
	global_inv scope:SCOPE_SE
	ds_load_2addr_b64 v[0:3], v83 offset1:44
	v_add_nc_u32_e32 v8, 0x400, v83
	ds_load_2addr_b64 v[4:7], v83 offset0:121 offset1:165
	ds_load_2addr_b64 v[8:11], v8 offset0:114 offset1:158
	;; [unrolled: 1-line block ×3, first 2 shown]
	v_lshlrev_b64_e32 v[35:36], 3, v[35:36]
	v_add_co_u32 v33, s0, s8, v33
	s_wait_alu 0xf1ff
	v_add_co_ci_u32_e64 v34, s0, s9, v34, s0
	s_movk_i32 s8, 0xfec1
	s_mov_b32 s9, -1
	s_wait_dscnt 0x3
	v_dual_mul_f32 v16, v78, v1 :: v_dual_mul_f32 v25, v76, v3
	v_mul_f32_e32 v26, v76, v2
	s_wait_dscnt 0x2
	v_mul_f32_e32 v18, v82, v5
	s_delay_alu instid0(VALU_DEP_3)
	v_fmac_f32_e32 v16, v77, v0
	s_wait_dscnt 0x0
	v_mul_f32_e32 v32, v72, v14
	v_mul_f32_e32 v0, v78, v0
	;; [unrolled: 1-line block ×4, first 2 shown]
	v_cvt_f64_f32_e32 v[16:17], v16
	v_mul_f32_e32 v22, v80, v8
	v_fma_f32 v0, v77, v1, -v0
	v_fmac_f32_e32 v18, v81, v4
	v_fma_f32 v19, v81, v5, -v19
	v_mul_f32_e32 v27, v68, v7
	v_fmac_f32_e32 v21, v79, v8
	v_cvt_f64_f32_e32 v[0:1], v0
	v_fma_f32 v22, v79, v9, -v22
	v_cvt_f64_f32_e32 v[4:5], v18
	v_cvt_f64_f32_e32 v[8:9], v19
	v_mul_f32_e32 v23, v70, v13
	v_dual_mul_f32 v24, v70, v12 :: v_dual_fmac_f32 v27, v67, v6
	v_mul_f32_e32 v6, v68, v6
	v_mul_f32_e32 v30, v74, v10
	;; [unrolled: 1-line block ×4, first 2 shown]
	v_fmac_f32_e32 v23, v69, v12
	v_fma_f32 v12, v69, v13, -v24
	v_fmac_f32_e32 v25, v75, v2
	v_fma_f32 v26, v75, v3, -v26
	v_fma_f32 v6, v67, v7, -v6
	;; [unrolled: 1-line block ×3, first 2 shown]
	v_fmac_f32_e32 v29, v73, v10
	v_fmac_f32_e32 v31, v71, v14
	v_fma_f32 v32, v71, v15, -v32
	v_cvt_f64_f32_e32 v[18:19], v21
	v_cvt_f64_f32_e32 v[21:22], v22
	;; [unrolled: 1-line block ×12, first 2 shown]
	s_wait_alu 0xfffe
	v_mul_f64_e32 v[16:17], s[2:3], v[16:17]
	v_mul_f64_e32 v[0:1], s[2:3], v[0:1]
	;; [unrolled: 1-line block ×16, first 2 shown]
	v_cvt_f32_f64_e32 v16, v[16:17]
	v_cvt_f32_f64_e32 v17, v[0:1]
	v_add_co_u32 v0, s0, v33, v35
	v_cvt_f32_f64_e32 v4, v[4:5]
	v_cvt_f32_f64_e32 v5, v[8:9]
	s_wait_alu 0xf1ff
	v_add_co_ci_u32_e64 v1, s0, v34, v36, s0
	s_mul_u64 s[0:1], s[4:5], 0x79
	s_mul_u64 s[4:5], s[4:5], s[8:9]
	s_wait_alu 0xfffe
	s_lshl_b64 s[6:7], s[0:1], 3
	s_lshl_b64 s[4:5], s[4:5], 3
	v_cvt_f32_f64_e32 v8, v[18:19]
	v_cvt_f32_f64_e32 v9, v[21:22]
	;; [unrolled: 1-line block ×8, first 2 shown]
	s_wait_alu 0xfffe
	v_add_co_u32 v14, s0, v0, s6
	v_cvt_f32_f64_e32 v18, v[27:28]
	v_cvt_f32_f64_e32 v6, v[10:11]
	s_wait_alu 0xf1ff
	v_add_co_ci_u32_e64 v15, s0, s7, v1, s0
	v_cvt_f32_f64_e32 v10, v[29:30]
	v_cvt_f32_f64_e32 v11, v[31:32]
	v_add_co_u32 v21, s0, v14, s6
	s_wait_alu 0xf1ff
	v_add_co_ci_u32_e64 v22, s0, s7, v15, s0
	global_store_b64 v[0:1], v[16:17], off
	v_add_co_u32 v23, s0, v21, s6
	s_wait_alu 0xf1ff
	v_add_co_ci_u32_e64 v24, s0, s7, v22, s0
	global_store_b64 v[14:15], v[4:5], off
	v_add_co_u32 v25, s0, v23, s4
	s_wait_alu 0xf1ff
	v_add_co_ci_u32_e64 v26, s0, s5, v24, s0
	s_delay_alu instid0(VALU_DEP_2) | instskip(SKIP_1) | instid1(VALU_DEP_2)
	v_add_co_u32 v16, s0, v25, s6
	s_wait_alu 0xf1ff
	v_add_co_ci_u32_e64 v17, s0, s7, v26, s0
	s_delay_alu instid0(VALU_DEP_2) | instskip(SKIP_1) | instid1(VALU_DEP_2)
	v_add_co_u32 v4, s0, v16, s6
	s_wait_alu 0xf1ff
	v_add_co_ci_u32_e64 v5, s0, s7, v17, s0
	global_store_b64 v[21:22], v[8:9], off
	v_add_co_u32 v0, s0, v4, s6
	s_wait_alu 0xf1ff
	v_add_co_ci_u32_e64 v1, s0, s7, v5, s0
	s_clause 0x1
	global_store_b64 v[23:24], v[2:3], off
	global_store_b64 v[25:26], v[12:13], off
	;; [unrolled: 1-line block ×5, first 2 shown]
	s_and_b32 exec_lo, exec_lo, vcc_lo
	s_cbranch_execz .LBB0_15
; %bb.14:
	s_clause 0x3
	global_load_b64 v[10:11], v[65:66], off offset:704
	global_load_b64 v[12:13], v[65:66], off offset:1672
	;; [unrolled: 1-line block ×4, first 2 shown]
	ds_load_2addr_b64 v[2:5], v83 offset0:88 offset1:209
	ds_load_2addr_b64 v[6:9], v20 offset0:74 offset1:195
	v_add_co_u32 v0, vcc_lo, v0, s4
	s_wait_alu 0xfffd
	v_add_co_ci_u32_e32 v1, vcc_lo, s5, v1, vcc_lo
	s_wait_loadcnt_dscnt 0x201
	v_dual_mul_f32 v18, v3, v11 :: v_dual_mul_f32 v19, v5, v13
	v_mul_f32_e32 v11, v2, v11
	s_wait_loadcnt_dscnt 0x100
	v_dual_mul_f32 v13, v4, v13 :: v_dual_mul_f32 v20, v7, v15
	v_mul_f32_e32 v15, v6, v15
	s_wait_loadcnt 0x0
	v_dual_mul_f32 v21, v9, v17 :: v_dual_fmac_f32 v18, v2, v10
	s_delay_alu instid0(VALU_DEP_3)
	v_dual_mul_f32 v17, v8, v17 :: v_dual_fmac_f32 v20, v6, v14
	v_fma_f32 v10, v10, v3, -v11
	v_fmac_f32_e32 v19, v4, v12
	v_fma_f32 v11, v12, v5, -v13
	v_fma_f32 v12, v14, v7, -v15
	v_fmac_f32_e32 v21, v8, v16
	v_fma_f32 v16, v16, v9, -v17
	v_cvt_f64_f32_e32 v[2:3], v18
	v_cvt_f64_f32_e32 v[4:5], v10
	;; [unrolled: 1-line block ×8, first 2 shown]
	v_mul_f64_e32 v[2:3], s[2:3], v[2:3]
	v_mul_f64_e32 v[4:5], s[2:3], v[4:5]
	;; [unrolled: 1-line block ×8, first 2 shown]
	v_cvt_f32_f64_e32 v2, v[2:3]
	v_cvt_f32_f64_e32 v3, v[4:5]
	;; [unrolled: 1-line block ×8, first 2 shown]
	v_add_co_u32 v10, vcc_lo, v0, s6
	s_wait_alu 0xfffd
	v_add_co_ci_u32_e32 v11, vcc_lo, s7, v1, vcc_lo
	s_delay_alu instid0(VALU_DEP_2) | instskip(SKIP_1) | instid1(VALU_DEP_2)
	v_add_co_u32 v12, vcc_lo, v10, s6
	s_wait_alu 0xfffd
	v_add_co_ci_u32_e32 v13, vcc_lo, s7, v11, vcc_lo
	s_delay_alu instid0(VALU_DEP_2) | instskip(SKIP_1) | instid1(VALU_DEP_2)
	v_add_co_u32 v14, vcc_lo, v12, s6
	s_wait_alu 0xfffd
	v_add_co_ci_u32_e32 v15, vcc_lo, s7, v13, vcc_lo
	global_store_b64 v[0:1], v[2:3], off
	global_store_b64 v[10:11], v[4:5], off
	;; [unrolled: 1-line block ×4, first 2 shown]
.LBB0_15:
	s_nop 0
	s_sendmsg sendmsg(MSG_DEALLOC_VGPRS)
	s_endpgm
	.section	.rodata,"a",@progbits
	.p2align	6, 0x0
	.amdhsa_kernel bluestein_single_fwd_len484_dim1_sp_op_CI_CI
		.amdhsa_group_segment_fixed_size 3872
		.amdhsa_private_segment_fixed_size 0
		.amdhsa_kernarg_size 104
		.amdhsa_user_sgpr_count 2
		.amdhsa_user_sgpr_dispatch_ptr 0
		.amdhsa_user_sgpr_queue_ptr 0
		.amdhsa_user_sgpr_kernarg_segment_ptr 1
		.amdhsa_user_sgpr_dispatch_id 0
		.amdhsa_user_sgpr_private_segment_size 0
		.amdhsa_wavefront_size32 1
		.amdhsa_uses_dynamic_stack 0
		.amdhsa_enable_private_segment 0
		.amdhsa_system_sgpr_workgroup_id_x 1
		.amdhsa_system_sgpr_workgroup_id_y 0
		.amdhsa_system_sgpr_workgroup_id_z 0
		.amdhsa_system_sgpr_workgroup_info 0
		.amdhsa_system_vgpr_workitem_id 0
		.amdhsa_next_free_vgpr 187
		.amdhsa_next_free_sgpr 18
		.amdhsa_reserve_vcc 1
		.amdhsa_float_round_mode_32 0
		.amdhsa_float_round_mode_16_64 0
		.amdhsa_float_denorm_mode_32 3
		.amdhsa_float_denorm_mode_16_64 3
		.amdhsa_fp16_overflow 0
		.amdhsa_workgroup_processor_mode 1
		.amdhsa_memory_ordered 1
		.amdhsa_forward_progress 0
		.amdhsa_round_robin_scheduling 0
		.amdhsa_exception_fp_ieee_invalid_op 0
		.amdhsa_exception_fp_denorm_src 0
		.amdhsa_exception_fp_ieee_div_zero 0
		.amdhsa_exception_fp_ieee_overflow 0
		.amdhsa_exception_fp_ieee_underflow 0
		.amdhsa_exception_fp_ieee_inexact 0
		.amdhsa_exception_int_div_zero 0
	.end_amdhsa_kernel
	.text
.Lfunc_end0:
	.size	bluestein_single_fwd_len484_dim1_sp_op_CI_CI, .Lfunc_end0-bluestein_single_fwd_len484_dim1_sp_op_CI_CI
                                        ; -- End function
	.section	.AMDGPU.csdata,"",@progbits
; Kernel info:
; codeLenInByte = 13880
; NumSgprs: 20
; NumVgprs: 187
; ScratchSize: 0
; MemoryBound: 0
; FloatMode: 240
; IeeeMode: 1
; LDSByteSize: 3872 bytes/workgroup (compile time only)
; SGPRBlocks: 2
; VGPRBlocks: 23
; NumSGPRsForWavesPerEU: 20
; NumVGPRsForWavesPerEU: 187
; Occupancy: 8
; WaveLimiterHint : 1
; COMPUTE_PGM_RSRC2:SCRATCH_EN: 0
; COMPUTE_PGM_RSRC2:USER_SGPR: 2
; COMPUTE_PGM_RSRC2:TRAP_HANDLER: 0
; COMPUTE_PGM_RSRC2:TGID_X_EN: 1
; COMPUTE_PGM_RSRC2:TGID_Y_EN: 0
; COMPUTE_PGM_RSRC2:TGID_Z_EN: 0
; COMPUTE_PGM_RSRC2:TIDIG_COMP_CNT: 0
	.text
	.p2alignl 7, 3214868480
	.fill 96, 4, 3214868480
	.type	__hip_cuid_1b47f9687e5441ee,@object ; @__hip_cuid_1b47f9687e5441ee
	.section	.bss,"aw",@nobits
	.globl	__hip_cuid_1b47f9687e5441ee
__hip_cuid_1b47f9687e5441ee:
	.byte	0                               ; 0x0
	.size	__hip_cuid_1b47f9687e5441ee, 1

	.ident	"AMD clang version 19.0.0git (https://github.com/RadeonOpenCompute/llvm-project roc-6.4.0 25133 c7fe45cf4b819c5991fe208aaa96edf142730f1d)"
	.section	".note.GNU-stack","",@progbits
	.addrsig
	.addrsig_sym __hip_cuid_1b47f9687e5441ee
	.amdgpu_metadata
---
amdhsa.kernels:
  - .args:
      - .actual_access:  read_only
        .address_space:  global
        .offset:         0
        .size:           8
        .value_kind:     global_buffer
      - .actual_access:  read_only
        .address_space:  global
        .offset:         8
        .size:           8
        .value_kind:     global_buffer
      - .actual_access:  read_only
        .address_space:  global
        .offset:         16
        .size:           8
        .value_kind:     global_buffer
      - .actual_access:  read_only
        .address_space:  global
        .offset:         24
        .size:           8
        .value_kind:     global_buffer
      - .actual_access:  read_only
        .address_space:  global
        .offset:         32
        .size:           8
        .value_kind:     global_buffer
      - .offset:         40
        .size:           8
        .value_kind:     by_value
      - .address_space:  global
        .offset:         48
        .size:           8
        .value_kind:     global_buffer
      - .address_space:  global
        .offset:         56
        .size:           8
        .value_kind:     global_buffer
      - .address_space:  global
        .offset:         64
        .size:           8
        .value_kind:     global_buffer
      - .address_space:  global
        .offset:         72
        .size:           8
        .value_kind:     global_buffer
      - .offset:         80
        .size:           4
        .value_kind:     by_value
      - .address_space:  global
        .offset:         88
        .size:           8
        .value_kind:     global_buffer
      - .address_space:  global
        .offset:         96
        .size:           8
        .value_kind:     global_buffer
    .group_segment_fixed_size: 3872
    .kernarg_segment_align: 8
    .kernarg_segment_size: 104
    .language:       OpenCL C
    .language_version:
      - 2
      - 0
    .max_flat_workgroup_size: 44
    .name:           bluestein_single_fwd_len484_dim1_sp_op_CI_CI
    .private_segment_fixed_size: 0
    .sgpr_count:     20
    .sgpr_spill_count: 0
    .symbol:         bluestein_single_fwd_len484_dim1_sp_op_CI_CI.kd
    .uniform_work_group_size: 1
    .uses_dynamic_stack: false
    .vgpr_count:     187
    .vgpr_spill_count: 0
    .wavefront_size: 32
    .workgroup_processor_mode: 1
amdhsa.target:   amdgcn-amd-amdhsa--gfx1201
amdhsa.version:
  - 1
  - 2
...

	.end_amdgpu_metadata
